;; amdgpu-corpus repo=ROCm/rocFFT kind=compiled arch=gfx1201 opt=O3
	.text
	.amdgcn_target "amdgcn-amd-amdhsa--gfx1201"
	.amdhsa_code_object_version 6
	.protected	bluestein_single_fwd_len3200_dim1_half_op_CI_CI ; -- Begin function bluestein_single_fwd_len3200_dim1_half_op_CI_CI
	.globl	bluestein_single_fwd_len3200_dim1_half_op_CI_CI
	.p2align	8
	.type	bluestein_single_fwd_len3200_dim1_half_op_CI_CI,@function
bluestein_single_fwd_len3200_dim1_half_op_CI_CI: ; @bluestein_single_fwd_len3200_dim1_half_op_CI_CI
; %bb.0:
	s_load_b128 s[16:19], s[0:1], 0x28
	v_mul_u32_u24_e32 v1, 0x19a, v0
	s_mov_b32 s2, exec_lo
	v_mov_b32_e32 v47, 0
	s_delay_alu instid0(VALU_DEP_2) | instskip(NEXT) | instid1(VALU_DEP_1)
	v_lshrrev_b32_e32 v1, 16, v1
	v_add_nc_u32_e32 v46, ttmp9, v1
	s_wait_kmcnt 0x0
	s_delay_alu instid0(VALU_DEP_1)
	v_cmpx_gt_u64_e64 s[16:17], v[46:47]
	s_cbranch_execz .LBB0_2
; %bb.1:
	s_clause 0x1
	s_load_b128 s[8:11], s[0:1], 0x18
	s_load_b128 s[4:7], s[0:1], 0x0
	v_mul_lo_u16 v1, 0xa0, v1
	s_load_b64 s[0:1], s[0:1], 0x38
	s_delay_alu instid0(VALU_DEP_1) | instskip(NEXT) | instid1(VALU_DEP_1)
	v_sub_nc_u16 v47, v0, v1
	v_and_b32_e32 v100, 0xffff, v47
	s_wait_kmcnt 0x0
	s_load_b128 s[12:15], s[8:9], 0x0
	s_wait_kmcnt 0x0
	v_mad_co_u64_u32 v[0:1], null, s14, v46, 0
	v_mad_co_u64_u32 v[2:3], null, s12, v100, 0
	s_mul_u64 s[2:3], s[12:13], 0x500
	s_mul_i32 s8, s13, 0xa00
	s_delay_alu instid0(VALU_DEP_1) | instskip(NEXT) | instid1(VALU_DEP_1)
	v_mad_co_u64_u32 v[8:9], null, s15, v46, v[1:2]
	v_mov_b32_e32 v1, v8
	v_or_b32_e32 v89, 0x500, v100
	v_or_b32_e32 v74, 0xa00, v100
	s_delay_alu instid0(VALU_DEP_3) | instskip(NEXT) | instid1(VALU_DEP_3)
	v_lshlrev_b64_e32 v[0:1], 2, v[0:1]
	v_mad_co_u64_u32 v[4:5], null, s12, v89, 0
	s_delay_alu instid0(VALU_DEP_3) | instskip(NEXT) | instid1(VALU_DEP_2)
	v_mad_co_u64_u32 v[6:7], null, s12, v74, 0
	v_mad_co_u64_u32 v[9:10], null, s13, v100, v[3:4]
	s_delay_alu instid0(VALU_DEP_2) | instskip(NEXT) | instid1(VALU_DEP_3)
	v_mad_co_u64_u32 v[10:11], null, s13, v74, v[7:8]
	v_mad_co_u64_u32 v[11:12], null, s13, v89, v[5:6]
	v_lshlrev_b32_e32 v104, 2, v100
	v_add_co_u32 v8, vcc_lo, s18, v0
	v_mov_b32_e32 v3, v9
	s_delay_alu instid0(VALU_DEP_3) | instskip(SKIP_1) | instid1(VALU_DEP_3)
	v_dual_mov_b32 v7, v10 :: v_dual_add_nc_u32 v86, 0x2800, v104
	v_dual_mov_b32 v5, v11 :: v_dual_add_nc_u32 v88, 0x2c00, v104
	v_lshlrev_b64_e32 v[2:3], 2, v[2:3]
	s_delay_alu instid0(VALU_DEP_3) | instskip(SKIP_1) | instid1(VALU_DEP_4)
	v_lshlrev_b64_e32 v[6:7], 2, v[6:7]
	v_add_co_ci_u32_e32 v9, vcc_lo, s19, v1, vcc_lo
	v_lshlrev_b64_e32 v[0:1], 2, v[4:5]
	s_clause 0x1
	global_load_b32 v98, v104, s[4:5]
	global_load_b32 v97, v104, s[4:5] offset:5120
	v_add_co_u32 v2, vcc_lo, v8, v2
	s_wait_alu 0xfffd
	v_add_co_ci_u32_e32 v3, vcc_lo, v9, v3, vcc_lo
	v_add_co_u32 v4, vcc_lo, v8, v6
	s_wait_alu 0xfffd
	v_add_co_ci_u32_e32 v5, vcc_lo, v9, v7, vcc_lo
	;; [unrolled: 3-line block ×3, first 2 shown]
	s_clause 0x1
	global_load_b32 v95, v104, s[4:5] offset:1280
	global_load_b32 v75, v104, s[4:5] offset:10240
	s_clause 0x2
	global_load_b32 v10, v[2:3], off
	global_load_b32 v11, v[4:5], off
	;; [unrolled: 1-line block ×3, first 2 shown]
	v_add_co_u32 v0, vcc_lo, v2, s2
	s_wait_alu 0xfffd
	v_add_co_ci_u32_e32 v1, vcc_lo, s3, v3, vcc_lo
	v_add_nc_u32_e32 v105, 0xa00, v104
	v_add_nc_u32_e32 v87, 0x1e00, v104
	;; [unrolled: 1-line block ×3, first 2 shown]
	global_load_b32 v13, v[0:1], off
	v_add_co_u32 v0, vcc_lo, v0, s2
	s_wait_alu 0xfffd
	v_add_co_ci_u32_e32 v1, vcc_lo, s3, v1, vcc_lo
	global_load_b32 v93, v104, s[4:5] offset:2560
	global_load_b32 v14, v[0:1], off
	v_add_co_u32 v0, vcc_lo, v0, s2
	s_wait_alu 0xfffd
	v_add_co_ci_u32_e32 v1, vcc_lo, s3, v1, vcc_lo
	global_load_b32 v90, v104, s[4:5] offset:3840
	global_load_b32 v15, v[0:1], off
	v_mad_co_u64_u32 v[0:1], null, 0xa00, s12, v[0:1]
	s_clause 0x2
	global_load_b32 v70, v104, s[4:5] offset:640
	global_load_b32 v62, v104, s[4:5] offset:5760
	;; [unrolled: 1-line block ×3, first 2 shown]
	v_add_nc_u32_e32 v106, 0xe00, v104
	v_add_nc_u32_e32 v91, 0x2200, v104
	;; [unrolled: 1-line block ×4, first 2 shown]
	v_add_co_u32 v2, vcc_lo, v0, s2
	v_add_nc_u32_e32 v107, 0x400, v104
	s_wait_alu 0xfffd
	s_delay_alu instid0(VALU_DEP_3) | instskip(NEXT) | instid1(VALU_DEP_3)
	v_add_co_ci_u32_e32 v3, vcc_lo, s3, v1, vcc_lo
	v_add_co_u32 v4, vcc_lo, v2, s2
	s_wait_alu 0xfffd
	s_delay_alu instid0(VALU_DEP_2) | instskip(NEXT) | instid1(VALU_DEP_1)
	v_add_co_ci_u32_e32 v5, vcc_lo, s3, v3, vcc_lo
	v_mad_co_u64_u32 v[6:7], null, 0xa00, s12, v[4:5]
	global_load_b32 v16, v[0:1], off
	global_load_b32 v17, v[2:3], off
	;; [unrolled: 1-line block ×3, first 2 shown]
	s_clause 0x4
	global_load_b32 v76, v104, s[4:5] offset:1920
	global_load_b32 v72, v104, s[4:5] offset:3200
	;; [unrolled: 1-line block ×5, first 2 shown]
	v_add_nc_u32_e32 v7, s8, v7
	s_mul_i32 s8, s13, 0xffffd580
	s_wait_alu 0xfffe
	s_sub_co_i32 s8, s8, s12
	s_delay_alu instid0(VALU_DEP_1)
	v_mad_co_u64_u32 v[8:9], null, 0xffffd580, s12, v[6:7]
	global_load_b32 v5, v[6:7], off
	s_wait_alu 0xfffe
	v_add_nc_u32_e32 v9, s8, v9
	v_add_co_u32 v0, vcc_lo, v8, s2
	s_wait_alu 0xfffd
	s_delay_alu instid0(VALU_DEP_2) | instskip(NEXT) | instid1(VALU_DEP_2)
	v_add_co_ci_u32_e32 v1, vcc_lo, s3, v9, vcc_lo
	v_add_co_u32 v2, vcc_lo, v0, s2
	global_load_b32 v6, v[8:9], off
	s_wait_alu 0xfffd
	v_add_co_ci_u32_e32 v3, vcc_lo, s3, v1, vcc_lo
	global_load_b32 v7, v[0:1], off
	v_add_co_u32 v0, vcc_lo, v2, s2
	s_wait_alu 0xfffd
	v_add_co_ci_u32_e32 v1, vcc_lo, s3, v3, vcc_lo
	global_load_b32 v8, v[2:3], off
	v_add_co_u32 v2, vcc_lo, v0, s2
	;; [unrolled: 4-line block ×4, first 2 shown]
	s_wait_alu 0xfffd
	v_add_co_ci_u32_e32 v3, vcc_lo, s3, v1, vcc_lo
	global_load_b32 v19, v[0:1], off
	s_wait_loadcnt 0x1d
	v_lshrrev_b32_e32 v102, 16, v98
	s_wait_loadcnt 0x1c
	v_lshrrev_b32_e32 v101, 16, v97
	;; [unrolled: 2-line block ×5, first 2 shown]
	v_mul_f16_e32 v1, v102, v10
	s_wait_loadcnt 0x18
	v_lshrrev_b32_e32 v20, 16, v11
	s_wait_loadcnt 0x17
	v_lshrrev_b32_e32 v22, 16, v12
	v_mul_f16_e32 v21, v83, v11
	v_mul_f16_e32 v23, v102, v0
	v_fma_f16 v0, v98, v0, -v1
	v_mul_f16_e32 v1, v83, v20
	s_delay_alu instid0(VALU_DEP_4)
	v_fma_f16 v20, v75, v20, -v21
	v_mul_f16_e32 v21, v101, v12
	v_fmac_f16_e32 v23, v98, v10
	s_wait_loadcnt 0x16
	v_lshrrev_b32_e32 v10, 16, v13
	v_fmac_f16_e32 v1, v75, v11
	v_mul_f16_e32 v11, v99, v13
	v_fma_f16 v21, v97, v22, -v21
	v_mul_f16_e32 v22, v101, v22
	s_wait_loadcnt 0x15
	v_lshrrev_b32_e32 v96, 16, v93
	v_pack_b32_f16 v1, v1, v20
	v_fma_f16 v11, v95, v10, -v11
	v_mul_f16_e32 v10, v99, v10
	v_fmac_f16_e32 v22, v97, v12
	s_wait_loadcnt 0x14
	v_lshrrev_b32_e32 v12, 16, v14
	s_wait_loadcnt 0x13
	v_lshrrev_b32_e32 v94, 16, v90
	v_pack_b32_f16 v0, v23, v0
	v_fmac_f16_e32 v10, v95, v13
	v_mul_f16_e32 v13, v96, v14
	s_wait_loadcnt 0x11
	v_lshrrev_b32_e32 v77, 16, v70
	v_pack_b32_f16 v20, v22, v21
	s_wait_loadcnt 0x10
	v_lshrrev_b32_e32 v66, 16, v62
	v_pack_b32_f16 v10, v10, v11
	v_fma_f16 v13, v93, v12, -v13
	v_mul_f16_e32 v12, v96, v12
	v_lshrrev_b32_e32 v11, 16, v15
	s_wait_loadcnt 0xf
	v_lshrrev_b32_e32 v58, 16, v55
	s_delay_alu instid0(VALU_DEP_3) | instskip(SKIP_1) | instid1(VALU_DEP_2)
	v_fmac_f16_e32 v12, v93, v14
	v_mul_f16_e32 v14, v94, v15
	v_pack_b32_f16 v12, v12, v13
	s_delay_alu instid0(VALU_DEP_2)
	v_fma_f16 v14, v90, v11, -v14
	v_mul_f16_e32 v11, v94, v11
	ds_store_b32 v104, v10 offset:1280
	s_wait_loadcnt 0xe
	v_lshrrev_b32_e32 v10, 16, v16
	v_fmac_f16_e32 v11, v90, v15
	s_wait_loadcnt 0xb
	v_lshrrev_b32_e32 v78, 16, v76
	s_wait_loadcnt 0x9
	v_lshrrev_b32_e32 v85, 16, v84
	v_lshrrev_b32_e32 v73, 16, v72
	s_wait_loadcnt 0x7
	v_lshrrev_b32_e32 v82, 16, v81
	v_pack_b32_f16 v11, v11, v14
	ds_store_b32 v104, v12 offset:2560
	v_mul_f16_e32 v12, v85, v16
	v_lshrrev_b32_e32 v14, 16, v4
	v_mul_f16_e32 v13, v82, v17
	ds_store_b32 v104, v11 offset:3840
	s_clause 0x2
	global_load_b32 v79, v104, s[4:5] offset:8960
	global_load_b32 v61, v104, s[4:5] offset:8320
	;; [unrolled: 1-line block ×3, first 2 shown]
	v_fma_f16 v12, v84, v10, -v12
	v_mul_f16_e32 v10, v85, v10
	v_lshrrev_b32_e32 v11, 16, v17
	v_lshrrev_b32_e32 v65, 16, v64
	s_delay_alu instid0(VALU_DEP_3) | instskip(NEXT) | instid1(VALU_DEP_3)
	v_fmac_f16_e32 v10, v84, v16
	v_fma_f16 v13, v81, v11, -v13
	v_mul_f16_e32 v11, v82, v11
	s_delay_alu instid0(VALU_DEP_1)
	v_fmac_f16_e32 v11, v81, v17
	s_wait_loadcnt 0x8
	v_mul_f16_e32 v17, v77, v6
	s_wait_loadcnt 0x2
	v_lshrrev_b32_e32 v80, 16, v79
	s_wait_loadcnt 0x1
	v_lshrrev_b32_e32 v63, 16, v61
	;; [unrolled: 2-line block ×3, first 2 shown]
	v_mul_f16_e32 v15, v80, v4
	s_delay_alu instid0(VALU_DEP_2) | instskip(NEXT) | instid1(VALU_DEP_2)
	v_mul_f16_e32 v16, v68, v5
	v_fma_f16 v15, v79, v14, -v15
	v_mul_f16_e32 v14, v80, v14
	s_delay_alu instid0(VALU_DEP_1) | instskip(SKIP_1) | instid1(VALU_DEP_1)
	v_fmac_f16_e32 v14, v79, v4
	v_lshrrev_b32_e32 v4, 16, v5
	v_fma_f16 v16, v67, v4, -v16
	v_mul_f16_e32 v4, v68, v4
	s_delay_alu instid0(VALU_DEP_1) | instskip(SKIP_1) | instid1(VALU_DEP_2)
	v_fmac_f16_e32 v4, v67, v5
	v_lshrrev_b32_e32 v5, 16, v6
	v_pack_b32_f16 v4, v4, v16
	s_delay_alu instid0(VALU_DEP_2) | instskip(SKIP_1) | instid1(VALU_DEP_1)
	v_fma_f16 v17, v70, v5, -v17
	v_mul_f16_e32 v5, v77, v5
	v_fmac_f16_e32 v5, v70, v6
	v_pack_b32_f16 v6, v10, v12
	v_pack_b32_f16 v10, v11, v13
	;; [unrolled: 1-line block ×3, first 2 shown]
	v_mul_f16_e32 v12, v66, v18
	v_pack_b32_f16 v5, v5, v17
	ds_store_b32 v104, v20 offset:5120
	ds_store_b32 v104, v6 offset:6400
	;; [unrolled: 1-line block ×6, first 2 shown]
	ds_store_2addr_b32 v104, v0, v5 offset1:160
	s_clause 0x2
	global_load_b32 v69, v104, s[4:5] offset:4480
	global_load_b32 v59, v104, s[4:5] offset:9600
	;; [unrolled: 1-line block ×3, first 2 shown]
	global_load_b32 v4, v[2:3], off
	v_add_co_u32 v0, vcc_lo, v2, s2
	s_wait_alu 0xfffd
	v_add_co_ci_u32_e32 v1, vcc_lo, s3, v3, vcc_lo
	v_mul_f16_e32 v6, v78, v7
	s_delay_alu instid0(VALU_DEP_3)
	v_add_co_u32 v2, vcc_lo, v0, s2
	global_load_b32 v5, v[0:1], off
	s_wait_alu 0xfffd
	v_add_co_ci_u32_e32 v3, vcc_lo, s3, v1, vcc_lo
	v_add_co_u32 v0, vcc_lo, v2, s2
	v_mul_f16_e32 v10, v73, v8
	global_load_b32 v2, v[2:3], off
	s_wait_alu 0xfffd
	v_add_co_ci_u32_e32 v1, vcc_lo, s3, v3, vcc_lo
	v_lshrrev_b32_e32 v3, 16, v7
	v_cmp_gt_u16_e32 vcc_lo, 0x64, v47
	global_load_b32 v0, v[0:1], off
	v_fma_f16 v6, v76, v3, -v6
	v_mul_f16_e32 v3, v78, v3
	s_delay_alu instid0(VALU_DEP_1) | instskip(SKIP_1) | instid1(VALU_DEP_2)
	v_fmac_f16_e32 v3, v76, v7
	v_lshrrev_b32_e32 v7, 16, v8
	v_pack_b32_f16 v1, v3, v6
	s_delay_alu instid0(VALU_DEP_2) | instskip(SKIP_1) | instid1(VALU_DEP_1)
	v_fma_f16 v10, v72, v7, -v10
	v_mul_f16_e32 v7, v73, v7
	v_fmac_f16_e32 v7, v72, v8
	v_lshrrev_b32_e32 v8, 16, v9
	s_delay_alu instid0(VALU_DEP_2)
	v_pack_b32_f16 v3, v7, v10
	s_wait_loadcnt 0x6
	v_lshrrev_b32_e32 v71, 16, v69
	s_wait_loadcnt 0x5
	v_lshrrev_b32_e32 v60, 16, v59
	;; [unrolled: 2-line block ×4, first 2 shown]
	v_mul_f16_e32 v11, v71, v9
	s_delay_alu instid0(VALU_DEP_1) | instskip(SKIP_1) | instid1(VALU_DEP_1)
	v_fma_f16 v11, v69, v8, -v11
	v_mul_f16_e32 v8, v71, v8
	v_fmac_f16_e32 v8, v69, v9
	v_lshrrev_b32_e32 v9, 16, v18
	s_wait_loadcnt 0x1
	v_mul_f16_e32 v13, v58, v2
	s_delay_alu instid0(VALU_DEP_3) | instskip(NEXT) | instid1(VALU_DEP_3)
	v_pack_b32_f16 v6, v8, v11
	v_fma_f16 v12, v62, v9, -v12
	v_mul_f16_e32 v9, v66, v9
	v_mul_f16_e32 v11, v63, v4
	v_lshrrev_b32_e32 v8, 16, v19
	s_wait_loadcnt 0x0
	v_mul_f16_e32 v14, v57, v0
	v_fmac_f16_e32 v9, v62, v18
	v_fma_f16 v11, v61, v10, -v11
	v_mul_f16_e32 v10, v63, v10
	s_delay_alu instid0(VALU_DEP_3) | instskip(SKIP_1) | instid1(VALU_DEP_3)
	v_pack_b32_f16 v7, v9, v12
	v_mul_f16_e32 v12, v60, v5
	v_fmac_f16_e32 v10, v61, v4
	v_lshrrev_b32_e32 v4, 16, v5
	v_mul_f16_e32 v9, v65, v19
	s_delay_alu instid0(VALU_DEP_2) | instskip(SKIP_1) | instid1(VALU_DEP_3)
	v_fma_f16 v12, v59, v4, -v12
	v_mul_f16_e32 v4, v60, v4
	v_fma_f16 v9, v64, v8, -v9
	v_mul_f16_e32 v8, v65, v8
	s_delay_alu instid0(VALU_DEP_3) | instskip(SKIP_1) | instid1(VALU_DEP_3)
	v_fmac_f16_e32 v4, v59, v5
	v_lshrrev_b32_e32 v5, 16, v2
	v_fmac_f16_e32 v8, v64, v19
	s_delay_alu instid0(VALU_DEP_3) | instskip(NEXT) | instid1(VALU_DEP_3)
	v_pack_b32_f16 v4, v4, v12
	v_fma_f16 v13, v55, v5, -v13
	v_mul_f16_e32 v5, v58, v5
	s_delay_alu instid0(VALU_DEP_1) | instskip(SKIP_1) | instid1(VALU_DEP_2)
	v_fmac_f16_e32 v5, v55, v2
	v_lshrrev_b32_e32 v2, 16, v0
	v_pack_b32_f16 v5, v5, v13
	s_delay_alu instid0(VALU_DEP_2) | instskip(SKIP_1) | instid1(VALU_DEP_1)
	v_fma_f16 v14, v56, v2, -v14
	v_mul_f16_e32 v2, v57, v2
	v_fmac_f16_e32 v2, v56, v0
	v_pack_b32_f16 v0, v8, v9
	v_pack_b32_f16 v8, v10, v11
	s_delay_alu instid0(VALU_DEP_3)
	v_pack_b32_f16 v2, v2, v14
	ds_store_b32 v104, v1 offset:1920
	ds_store_b32 v104, v3 offset:3200
	;; [unrolled: 1-line block ×9, first 2 shown]
	s_load_b128 s[12:15], s[10:11], 0x0
	global_wb scope:SCOPE_SE
	s_wait_dscnt 0x0
	s_wait_kmcnt 0x0
	s_barrier_signal -1
	s_barrier_wait -1
	global_inv scope:SCOPE_SE
	ds_load_2addr_b32 v[2:3], v86 offset1:160
	ds_load_2addr_b32 v[0:1], v87 offset1:160
	;; [unrolled: 1-line block ×4, first 2 shown]
	s_mov_b32 s10, 0x47ae147b
	s_mov_b32 s11, 0x3f347ae1
	s_mul_i32 s9, s13, 0xa00
	s_wait_dscnt 0x3
	v_lshrrev_b32_e32 v26, 16, v2
	s_wait_dscnt 0x2
	v_sub_f16_e32 v8, v0, v2
	s_wait_dscnt 0x0
	v_sub_f16_e32 v9, v4, v6
	v_lshrrev_b32_e32 v23, 16, v4
	v_lshrrev_b32_e32 v24, 16, v0
	;; [unrolled: 1-line block ×3, first 2 shown]
	v_sub_f16_e32 v43, v4, v0
	v_add_f16_e32 v21, v9, v8
	ds_load_2addr_b32 v[14:15], v88 offset0:64 offset1:224
	ds_load_2addr_b32 v[8:9], v91 offset0:64 offset1:224
	ds_load_2addr_b32 v[12:13], v106 offset0:64 offset1:224
	ds_load_2addr_b32 v[10:11], v92 offset0:64 offset1:224
	v_add_f16_e32 v18, v23, v24
	v_sub_f16_e32 v19, v24, v26
	v_sub_f16_e32 v37, v23, v24
	;; [unrolled: 1-line block ×6, first 2 shown]
	s_wait_dscnt 0x3
	v_lshrrev_b32_e32 v34, 16, v14
	s_wait_dscnt 0x2
	v_sub_f16_e32 v16, v8, v14
	s_wait_dscnt 0x0
	v_sub_f16_e32 v17, v10, v12
	v_lshrrev_b32_e32 v28, 16, v10
	v_lshrrev_b32_e32 v30, 16, v8
	;; [unrolled: 1-line block ×3, first 2 shown]
	v_sub_f16_e32 v48, v12, v14
	v_add_f16_e32 v22, v17, v16
	ds_load_2addr_b32 v[16:17], v104 offset1:160
	v_add_f16_e32 v32, v28, v30
	v_add_f16_e32 v35, v33, v34
	v_sub_f16_e32 v36, v30, v34
	v_sub_f16_e32 v40, v28, v30
	;; [unrolled: 1-line block ×3, first 2 shown]
	s_wait_dscnt 0x0
	v_lshrrev_b32_e32 v20, 16, v16
	s_delay_alu instid0(VALU_DEP_1) | instskip(SKIP_3) | instid1(VALU_DEP_3)
	v_fma_f16 v29, -0.5, v18, v20
	v_add_f16_e32 v18, v25, v26
	v_sub_f16_e32 v26, v34, v30
	v_sub_f16_e32 v30, v12, v10
	v_fmac_f16_e32 v20, -0.5, v18
	v_sub_f16_e32 v18, v23, v25
	v_sub_f16_e32 v23, v25, v23
	;; [unrolled: 1-line block ×3, first 2 shown]
	s_delay_alu instid0(VALU_DEP_4) | instskip(NEXT) | instid1(VALU_DEP_4)
	v_fmamk_f16 v44, v43, 0x3b9c, v20
	v_add_f16_e32 v27, v18, v19
	ds_load_2addr_b32 v[18:19], v107 offset0:64 offset1:224
	v_fmac_f16_e32 v20, 0xbb9c, v43
	v_add_f16_e32 v25, v25, v26
	v_fmac_f16_e32 v44, 0xb8b4, v45
	global_wb scope:SCOPE_SE
	s_wait_dscnt 0x0
	s_barrier_signal -1
	v_fmac_f16_e32 v20, 0x38b4, v45
	s_barrier_wait -1
	v_fmac_f16_e32 v44, 0x34f2, v27
	global_inv scope:SCOPE_SE
	v_fmac_f16_e32 v20, 0x34f2, v27
	v_sub_f16_e32 v27, v10, v8
	v_lshrrev_b32_e32 v31, 16, v18
	s_delay_alu instid0(VALU_DEP_1) | instskip(SKIP_3) | instid1(VALU_DEP_2)
	v_fma_f16 v32, -0.5, v32, v31
	v_fmac_f16_e32 v31, -0.5, v35
	v_sub_f16_e32 v35, v28, v33
	v_sub_f16_e32 v28, v14, v8
	v_add_f16_e32 v35, v35, v36
	v_add_f16_e32 v36, v6, v2
	s_delay_alu instid0(VALU_DEP_3)
	v_add_f16_e32 v28, v30, v28
	v_add_f16_e32 v30, v23, v24
	;; [unrolled: 1-line block ×3, first 2 shown]
	v_fmamk_f16 v24, v48, 0xbb9c, v32
	v_fma_f16 v36, -0.5, v36, v16
	v_fmac_f16_e32 v32, 0x3b9c, v48
	v_pk_add_f16 v6, v16, v6
	v_fma_f16 v26, -0.5, v23, v18
	v_fmac_f16_e32 v24, 0xb8b4, v27
	v_fmamk_f16 v38, v37, 0xbb9c, v36
	v_fmac_f16_e32 v36, 0x3b9c, v37
	v_fmac_f16_e32 v32, 0x38b4, v27
	v_fmamk_f16 v23, v42, 0x3b9c, v26
	v_fmac_f16_e32 v24, 0x34f2, v25
	v_fmac_f16_e32 v38, 0x38b4, v39
	;; [unrolled: 1-line block ×8, first 2 shown]
	v_add_f16_e32 v21, v12, v14
	v_fmac_f16_e32 v23, 0x34f2, v28
	v_fmac_f16_e32 v26, 0xb8b4, v40
	s_delay_alu instid0(VALU_DEP_3) | instskip(NEXT) | instid1(VALU_DEP_3)
	v_fma_f16 v21, -0.5, v21, v18
	v_mul_f16_e32 v33, 0x3a79, v23
	v_mul_f16_e32 v34, 0xb8b4, v23
	v_add_f16_e32 v23, v4, v0
	v_fmac_f16_e32 v26, 0x34f2, v28
	v_fmamk_f16 v41, v40, 0xbb9c, v21
	v_fmac_f16_e32 v21, 0x3b9c, v40
	v_fmac_f16_e32 v33, 0x38b4, v24
	;; [unrolled: 1-line block ×3, first 2 shown]
	v_pk_add_f16 v4, v6, v4
	v_fmac_f16_e32 v41, 0x38b4, v42
	v_fmac_f16_e32 v21, 0xb8b4, v42
	v_pk_add_f16 v6, v18, v12
	v_sub_f16_e32 v12, v7, v5
	v_lshrrev_b32_e32 v18, 16, v1
	v_fmac_f16_e32 v41, 0x34f2, v22
	v_fmac_f16_e32 v21, 0x34f2, v22
	v_fmamk_f16 v22, v27, 0x3b9c, v31
	v_fmac_f16_e32 v31, 0xbb9c, v27
	v_pk_add_f16 v6, v6, v10
	v_mul_f16_e32 v49, 0xbb9c, v41
	v_sub_f16_e32 v10, v7, v3
	v_fmac_f16_e32 v22, 0xb8b4, v48
	v_fmac_f16_e32 v31, 0x38b4, v48
	s_delay_alu instid0(VALU_DEP_2) | instskip(NEXT) | instid1(VALU_DEP_2)
	v_fmac_f16_e32 v22, 0x34f2, v35
	v_fmac_f16_e32 v31, 0x34f2, v35
	v_mul_f16_e32 v35, 0xb4f2, v21
	s_delay_alu instid0(VALU_DEP_3) | instskip(SKIP_1) | instid1(VALU_DEP_3)
	v_mul_f16_e32 v50, 0x3b9c, v22
	v_fmac_f16_e32 v49, 0x34f2, v22
	v_fmac_f16_e32 v35, 0x3b9c, v31
	v_mul_f16_e32 v31, 0xb4f2, v31
	s_delay_alu instid0(VALU_DEP_4) | instskip(NEXT) | instid1(VALU_DEP_4)
	v_fmac_f16_e32 v50, 0x34f2, v41
	v_sub_f16_e32 v24, v44, v49
	s_delay_alu instid0(VALU_DEP_3) | instskip(SKIP_1) | instid1(VALU_DEP_4)
	v_fmac_f16_e32 v31, 0xbb9c, v21
	v_add_f16_e32 v21, v36, v35
	v_add_f16_e32 v41, v38, v50
	v_sub_f16_e32 v38, v38, v50
	v_fmamk_f16 v50, v45, 0xbb9c, v29
	v_add_f16_e32 v22, v20, v31
	v_fmac_f16_e32 v29, 0x3b9c, v45
	s_delay_alu instid0(VALU_DEP_4) | instskip(NEXT) | instid1(VALU_DEP_4)
	v_pack_b32_f16 v24, v38, v24
	v_fmac_f16_e32 v50, 0xb8b4, v43
	s_delay_alu instid0(VALU_DEP_4)
	v_pack_b32_f16 v22, v21, v22
	v_add_f16_e32 v21, v44, v49
	v_fma_f16 v44, -0.5, v23, v16
	v_fmac_f16_e32 v29, 0x38b4, v43
	v_fmac_f16_e32 v50, 0x34f2, v30
	v_lshrrev_b32_e32 v16, 16, v5
	v_pack_b32_f16 v21, v41, v21
	v_sub_f16_e32 v41, v2, v0
	v_fmamk_f16 v49, v39, 0x3b9c, v44
	v_fmac_f16_e32 v44, 0xbb9c, v39
	v_fmac_f16_e32 v29, 0x34f2, v30
	v_mul_f16_e32 v30, 0xba79, v26
	v_add_f16_e32 v41, v51, v41
	v_fmac_f16_e32 v49, 0x38b4, v37
	v_fmac_f16_e32 v44, 0xb8b4, v37
	v_pk_add_f16 v0, v4, v0
	v_fmac_f16_e32 v30, 0x38b4, v32
	v_mul_f16_e32 v32, 0xba79, v32
	v_fmac_f16_e32 v49, 0x34f2, v41
	v_pk_add_f16 v4, v6, v8
	v_fmac_f16_e32 v44, 0x34f2, v41
	v_add_f16_e32 v27, v50, v34
	v_fmac_f16_e32 v32, 0xb8b4, v26
	v_add_f16_e32 v25, v49, v33
	v_pk_add_f16 v0, v0, v2
	v_pk_add_f16 v2, v4, v14
	v_sub_f16_e32 v6, v20, v31
	v_sub_f16_e32 v23, v49, v33
	v_pack_b32_f16 v26, v25, v27
	v_sub_f16_e32 v51, v50, v34
	v_pk_add_f16 v25, v0, v2
	v_pk_add_f16 v28, v0, v2 neg_lo:[0,1] neg_hi:[0,1]
	v_add_f16_e32 v0, v44, v30
	v_add_f16_e32 v2, v29, v32
	v_sub_f16_e32 v4, v29, v32
	v_pack_b32_f16 v23, v23, v51
	v_sub_f16_e32 v8, v1, v3
	v_add_f16_e32 v14, v5, v1
	v_pack_b32_f16 v27, v0, v2
	v_mul_lo_u16 v0, v47, 10
	v_sub_f16_e32 v2, v44, v30
	s_delay_alu instid0(VALU_DEP_4) | instskip(NEXT) | instid1(VALU_DEP_3)
	v_fma_f16 v14, -0.5, v14, v17
	v_and_b32_e32 v0, 0xffff, v0
	s_delay_alu instid0(VALU_DEP_1)
	v_lshlrev_b32_e32 v112, 2, v0
	v_sub_f16_e32 v0, v36, v35
	ds_store_2addr_b64 v112, v[25:26], v[21:22] offset1:1
	ds_store_2addr_b64 v112, v[27:28], v[23:24] offset0:2 offset1:3
	v_pack_b32_f16 v20, v0, v6
	v_pk_add_f16 v0, v17, v7
	v_pack_b32_f16 v21, v2, v4
	v_lshrrev_b32_e32 v2, 16, v3
	v_sub_f16_e32 v4, v3, v1
	v_lshrrev_b32_e32 v22, 16, v15
	v_pk_add_f16 v0, v0, v5
	ds_store_b64 v112, v[20:21] offset:32
	v_sub_f16_e32 v23, v15, v9
	v_lshrrev_b32_e32 v24, 16, v13
	v_sub_f16_e32 v25, v13, v11
	v_pk_add_f16 v0, v0, v1
	v_add_f16_e32 v26, v11, v9
	v_lshrrev_b32_e32 v27, 16, v11
	v_sub_f16_e32 v28, v18, v2
	v_add_f16_e32 v29, v24, v22
	v_pk_add_f16 v6, v0, v3
	v_add_f16_e32 v0, v7, v3
	v_lshrrev_b32_e32 v3, 16, v7
	v_sub_f16_e32 v7, v5, v7
	v_sub_f16_e32 v5, v5, v1
	;; [unrolled: 1-line block ×3, first 2 shown]
	v_fma_f16 v20, -0.5, v0, v17
	v_pk_add_f16 v0, v19, v13
	v_lshrrev_b32_e32 v17, 16, v17
	v_add_f16_e32 v7, v7, v8
	v_add_f16_e32 v8, v16, v18
	v_fma_f16 v26, -0.5, v26, v19
	v_pk_add_f16 v0, v0, v11
	v_sub_f16_e32 v32, v3, v2
	v_sub_f16_e32 v34, v24, v22
	v_fma_f16 v8, -0.5, v8, v17
	v_add_f16_e32 v4, v12, v4
	v_pk_add_f16 v0, v0, v9
	v_add_f16_e32 v12, v25, v23
	s_delay_alu instid0(VALU_DEP_4) | instskip(SKIP_1) | instid1(VALU_DEP_4)
	v_fmamk_f16 v25, v10, 0xbb9c, v8
	v_fmac_f16_e32 v8, 0x3b9c, v10
	v_pk_add_f16 v21, v0, v15
	v_add_f16_e32 v0, v13, v15
	v_sub_f16_e32 v15, v13, v15
	v_sub_f16_e32 v13, v11, v13
	;; [unrolled: 1-line block ×3, first 2 shown]
	v_lshrrev_b32_e32 v9, 16, v9
	v_fma_f16 v0, -0.5, v0, v19
	v_lshrrev_b32_e32 v19, 16, v19
	v_add_f16_e32 v1, v13, v1
	v_add_f16_e32 v13, v3, v2
	v_sub_f16_e32 v30, v9, v22
	v_sub_f16_e32 v2, v2, v18
	v_fmac_f16_e32 v25, 0xb8b4, v5
	v_fmac_f16_e32 v8, 0x38b4, v5
	v_fmac_f16_e32 v17, -0.5, v13
	v_sub_f16_e32 v13, v16, v3
	v_sub_f16_e32 v3, v3, v16
	s_delay_alu instid0(VALU_DEP_3) | instskip(NEXT) | instid1(VALU_DEP_3)
	v_fmamk_f16 v35, v5, 0x3b9c, v17
	v_add_f16_e32 v13, v13, v28
	v_add_f16_e32 v28, v27, v9
	v_fmac_f16_e32 v17, 0xbb9c, v5
	s_delay_alu instid0(VALU_DEP_4) | instskip(NEXT) | instid1(VALU_DEP_3)
	v_fmac_f16_e32 v35, 0xb8b4, v10
	v_fma_f16 v28, -0.5, v28, v19
	v_fmac_f16_e32 v19, -0.5, v29
	v_sub_f16_e32 v29, v27, v24
	v_fmac_f16_e32 v17, 0x38b4, v10
	v_fmac_f16_e32 v35, 0x34f2, v13
	s_delay_alu instid0(VALU_DEP_3)
	v_add_f16_e32 v29, v29, v30
	v_sub_f16_e32 v30, v16, v18
	v_add_f16_e32 v18, v3, v2
	v_fmamk_f16 v2, v34, 0x3b9c, v26
	v_sub_f16_e32 v16, v24, v27
	v_fmamk_f16 v3, v15, 0xbb9c, v28
	v_fmamk_f16 v31, v30, 0xbb9c, v20
	v_fmac_f16_e32 v20, 0x3b9c, v30
	v_fmac_f16_e32 v26, 0xbb9c, v34
	;; [unrolled: 1-line block ×6, first 2 shown]
	v_fmamk_f16 v24, v32, 0x3b9c, v14
	v_fmac_f16_e32 v28, 0x38b4, v11
	v_fmac_f16_e32 v17, 0x34f2, v13
	;; [unrolled: 1-line block ×4, first 2 shown]
	v_sub_f16_e32 v7, v27, v9
	v_sub_f16_e32 v9, v22, v9
	v_fmac_f16_e32 v24, 0x38b4, v30
	v_fmac_f16_e32 v14, 0xbb9c, v32
	;; [unrolled: 1-line block ×3, first 2 shown]
	v_fmamk_f16 v33, v7, 0xbb9c, v0
	v_fmac_f16_e32 v0, 0x3b9c, v7
	v_fmac_f16_e32 v2, 0x38b4, v7
	v_add_f16_e32 v9, v16, v9
	v_fmac_f16_e32 v26, 0xb8b4, v7
	v_fmac_f16_e32 v33, 0x38b4, v34
	;; [unrolled: 1-line block ×8, first 2 shown]
	v_fmamk_f16 v1, v11, 0x3b9c, v19
	v_fmac_f16_e32 v19, 0xbb9c, v11
	v_mul_f16_e32 v16, 0x3a79, v2
	v_mul_f16_e32 v22, 0xb8b4, v2
	;; [unrolled: 1-line block ×3, first 2 shown]
	v_fmac_f16_e32 v1, 0xb8b4, v15
	v_fmac_f16_e32 v19, 0x38b4, v15
	;; [unrolled: 1-line block ×9, first 2 shown]
	v_mul_f16_e32 v9, 0xba79, v26
	v_mul_f16_e32 v10, 0xba79, v28
	v_fmac_f16_e32 v13, 0x3b9c, v19
	v_mul_f16_e32 v19, 0xb4f2, v19
	v_mul_f16_e32 v29, 0xbb9c, v33
	;; [unrolled: 1-line block ×3, first 2 shown]
	v_fmac_f16_e32 v14, 0x34f2, v4
	v_fmac_f16_e32 v8, 0x34f2, v18
	;; [unrolled: 1-line block ×3, first 2 shown]
	v_add_f16_e32 v4, v24, v16
	v_add_f16_e32 v5, v25, v22
	v_fmac_f16_e32 v9, 0x38b4, v28
	v_fmac_f16_e32 v10, 0xb8b4, v26
	;; [unrolled: 1-line block ×4, first 2 shown]
	v_add_f16_e32 v0, v20, v13
	v_add_f16_e32 v1, v17, v19
	v_sub_f16_e32 v2, v24, v16
	v_pack_b32_f16 v5, v4, v5
	v_pk_add_f16 v4, v6, v21
	v_pk_add_f16 v7, v6, v21 neg_lo:[0,1] neg_hi:[0,1]
	v_add_f16_e32 v6, v14, v9
	v_add_f16_e32 v11, v8, v10
	v_add_co_u32 v16, null, 0xa0, v100
	v_pack_b32_f16 v1, v0, v1
	v_add_f16_e32 v0, v31, v36
	v_add_f16_e32 v33, v35, v29
	v_pack_b32_f16 v6, v6, v11
	v_mul_u32_u24_e32 v11, 10, v16
	v_sub_f16_e32 v3, v31, v36
	v_sub_f16_e32 v23, v35, v29
	;; [unrolled: 1-line block ×3, first 2 shown]
	v_pack_b32_f16 v0, v0, v33
	v_lshlrev_b32_e32 v113, 2, v11
	s_delay_alu instid0(VALU_DEP_4) | instskip(NEXT) | instid1(VALU_DEP_4)
	v_pack_b32_f16 v3, v3, v23
	v_pack_b32_f16 v2, v2, v27
	ds_store_2addr_b64 v113, v[4:5], v[0:1] offset1:1
	ds_store_2addr_b64 v113, v[6:7], v[2:3] offset0:2 offset1:3
	v_sub_f16_e32 v0, v20, v13
	v_sub_f16_e32 v1, v14, v9
	;; [unrolled: 1-line block ×4, first 2 shown]
	s_delay_alu instid0(VALU_DEP_2) | instskip(NEXT) | instid1(VALU_DEP_2)
	v_pack_b32_f16 v1, v1, v2
	v_pack_b32_f16 v0, v0, v3
	ds_store_b64 v113, v[0:1] offset:32
	v_and_b32_e32 v0, 0xffff, v16
	v_and_b32_e32 v1, 0xff, v47
	global_wb scope:SCOPE_SE
	s_wait_dscnt 0x0
	s_barrier_signal -1
	s_barrier_wait -1
	v_mul_u32_u24_e32 v0, 0xcccd, v0
	v_mul_lo_u16 v1, 0xcd, v1
	global_inv scope:SCOPE_SE
	ds_load_2addr_b32 v[19:20], v107 offset0:64 offset1:224
	v_lshrrev_b32_e32 v17, 19, v0
	v_lshrrev_b16 v0, 11, v1
	s_delay_alu instid0(VALU_DEP_2) | instskip(NEXT) | instid1(VALU_DEP_1)
	v_mul_lo_u16 v1, v17, 10
	v_sub_nc_u16 v18, v16, v1
	s_delay_alu instid0(VALU_DEP_3) | instskip(SKIP_1) | instid1(VALU_DEP_3)
	v_mul_lo_u16 v1, v0, 10
	v_and_b32_e32 v0, 0xffff, v0
	v_mul_lo_u16 v2, v18, 36
	s_delay_alu instid0(VALU_DEP_3) | instskip(NEXT) | instid1(VALU_DEP_3)
	v_sub_nc_u16 v1, v47, v1
	v_mul_u32_u24_e32 v4, 0x64, v0
	s_wait_dscnt 0x0
	v_lshrrev_b32_e32 v21, 16, v19
	v_lshrrev_b32_e32 v22, 16, v20
	v_and_b32_e32 v2, 0xffff, v2
	v_and_b32_e32 v3, 0xff, v1
	v_mad_u16 v17, 0x64, v17, v18
	s_delay_alu instid0(VALU_DEP_3) | instskip(NEXT) | instid1(VALU_DEP_3)
	v_add_co_u32 v0, s2, s6, v2
	v_add_lshl_u32 v108, v4, v3, 2
	v_mad_co_u64_u32 v[2:3], null, v3, 36, s[6:7]
	s_wait_alu 0xf1ff
	v_add_co_ci_u32_e64 v1, null, s7, 0, s2
	v_and_b32_e32 v17, 0xffff, v17
	s_clause 0x4
	global_load_b32 v111, v[2:3], off offset:32
	global_load_b128 v[8:11], v[2:3], off
	global_load_b128 v[4:7], v[2:3], off offset:16
	global_load_b128 v[12:15], v[0:1], off
	global_load_b32 v109, v[0:1], off offset:32
	ds_load_2addr_b32 v[119:120], v104 offset1:160
	s_wait_loadcnt 0x3
	v_lshrrev_b32_e32 v128, 16, v8
	v_lshrrev_b32_e32 v142, 16, v9
	s_wait_loadcnt 0x1
	v_lshrrev_b32_e32 v126, 16, v12
	v_lshrrev_b32_e32 v129, 16, v13
	v_lshrrev_b32_e32 v143, 16, v10
	v_mul_f16_e64 v2, v21, v128
	v_mul_f16_e64 v122, v19, v128
	v_lshrrev_b32_e32 v131, 16, v14
	v_lshrrev_b32_e32 v147, 16, v11
	;; [unrolled: 1-line block ×3, first 2 shown]
	v_fma_f16 v121, v19, v8, -v2
	v_mul_f16_e32 v2, v22, v126
	v_mul_f16_e32 v24, v20, v126
	v_lshrrev_b32_e32 v133, 16, v4
	v_lshrrev_b32_e32 v136, 16, v5
	;; [unrolled: 1-line block ×3, first 2 shown]
	v_fma_f16 v23, v20, v12, -v2
	ds_load_2addr_b32 v[2:3], v105 offset1:160
	v_lshrrev_b32_e32 v139, 16, v7
	v_lshrrev_b32_e32 v115, 16, v111
	s_wait_loadcnt 0x0
	v_lshrrev_b32_e32 v110, 16, v109
	v_fmac_f16_e32 v122, v21, v8
	v_fmac_f16_e32 v24, v22, v12
	s_wait_dscnt 0x0
	v_lshrrev_b32_e32 v41, 16, v2
	v_lshrrev_b32_e32 v42, 16, v3
	v_mul_f16_e64 v124, v2, v142
	v_mul_f16_e64 v25, v3, v129
	s_delay_alu instid0(VALU_DEP_4) | instskip(NEXT) | instid1(VALU_DEP_3)
	v_mul_f16_e64 v19, v41, v142
	v_fmac_f16_e32 v124, v41, v9
	s_delay_alu instid0(VALU_DEP_3) | instskip(NEXT) | instid1(VALU_DEP_3)
	v_fmac_f16_e32 v25, v42, v13
	v_fma_f16 v123, v2, v9, -v19
	v_mul_f16_e64 v19, v42, v129
	s_delay_alu instid0(VALU_DEP_1)
	v_fma_f16 v28, v3, v13, -v19
	ds_load_2addr_b32 v[2:3], v106 offset0:64 offset1:224
	s_wait_dscnt 0x0
	v_lshrrev_b32_e32 v43, 16, v2
	v_lshrrev_b32_e32 v44, 16, v3
	v_mul_f16_e64 v137, v2, v143
	v_mul_f16_e64 v29, v3, v131
	s_delay_alu instid0(VALU_DEP_4) | instskip(NEXT) | instid1(VALU_DEP_3)
	v_mul_f16_e64 v19, v43, v143
	v_fmac_f16_e64 v137, v43, v10
	s_delay_alu instid0(VALU_DEP_3) | instskip(NEXT) | instid1(VALU_DEP_3)
	v_fmac_f16_e32 v29, v44, v14
	v_fma_f16 v125, v2, v10, -v19
	v_mul_f16_e64 v19, v44, v131
	s_delay_alu instid0(VALU_DEP_4) | instskip(NEXT) | instid1(VALU_DEP_3)
	v_add_f16_e64 v164, v122, v137
	v_add_f16_e64 v163, v121, v125
	s_delay_alu instid0(VALU_DEP_3)
	v_fma_f16 v30, v3, v14, -v19
	ds_load_2addr_b32 v[2:3], v103 offset1:160
	s_wait_dscnt 0x0
	v_lshrrev_b32_e32 v45, 16, v2
	v_lshrrev_b32_e32 v48, 16, v3
	v_mul_f16_e64 v141, v2, v147
	v_mul_f16_e64 v26, v3, v134
	s_delay_alu instid0(VALU_DEP_4) | instskip(NEXT) | instid1(VALU_DEP_3)
	v_mul_f16_e64 v19, v45, v147
	v_fmac_f16_e64 v141, v45, v11
	s_delay_alu instid0(VALU_DEP_3) | instskip(NEXT) | instid1(VALU_DEP_3)
	v_fmac_f16_e32 v26, v48, v15
	v_fma_f16 v140, v2, v11, -v19
	v_mul_f16_e64 v19, v48, v134
	s_delay_alu instid0(VALU_DEP_2) | instskip(NEXT) | instid1(VALU_DEP_2)
	v_sub_f16_e64 v158, v123, v140
	v_fma_f16 v32, v3, v15, -v19
	ds_load_2addr_b32 v[19:20], v92 offset0:64 offset1:224
	s_wait_dscnt 0x0
	v_lshrrev_b32_e32 v49, 16, v19
	v_lshrrev_b32_e32 v50, 16, v20
	v_mul_f16_e64 v145, v19, v133
	s_delay_alu instid0(VALU_DEP_3) | instskip(NEXT) | instid1(VALU_DEP_2)
	v_mul_f16_e64 v2, v49, v133
	v_fmac_f16_e64 v145, v49, v4
	s_delay_alu instid0(VALU_DEP_2)
	v_fma_f16 v144, v19, v4, -v2
	global_load_b128 v[0:3], v[0:1], off offset:16
	v_add_f16_e64 v164, v164, v145
	v_add_f16_e64 v163, v163, v144
	s_wait_loadcnt 0x0
	v_lshrrev_b32_e32 v127, 16, v0
	v_lshrrev_b32_e32 v130, 16, v1
	;; [unrolled: 1-line block ×4, first 2 shown]
	s_delay_alu instid0(VALU_DEP_4) | instskip(SKIP_1) | instid1(VALU_DEP_2)
	v_mul_f16_e32 v27, v50, v127
	v_mul_f16_e32 v33, v20, v127
	v_fma_f16 v34, v20, v0, -v27
	ds_load_2addr_b32 v[19:20], v87 offset1:160
	v_fmac_f16_e32 v33, v50, v0
	s_wait_dscnt 0x0
	v_lshrrev_b32_e32 v51, 16, v19
	v_lshrrev_b32_e32 v52, 16, v20
	v_mul_f16_e64 v148, v19, v136
	s_delay_alu instid0(VALU_DEP_3) | instskip(NEXT) | instid1(VALU_DEP_2)
	v_mul_f16_e64 v27, v51, v136
	v_fmac_f16_e64 v148, v51, v5
	s_delay_alu instid0(VALU_DEP_2) | instskip(SKIP_1) | instid1(VALU_DEP_3)
	v_fma_f16 v146, v19, v5, -v27
	v_mul_f16_e64 v27, v52, v130
	v_sub_f16_e64 v176, v141, v148
	s_delay_alu instid0(VALU_DEP_3) | instskip(NEXT) | instid1(VALU_DEP_3)
	v_sub_f16_e64 v179, v140, v146
	v_fma_f16 v35, v20, v1, -v27
	v_mul_f16_e64 v27, v20, v130
	ds_load_2addr_b32 v[19:20], v91 offset0:64 offset1:224
	v_fmac_f16_e32 v27, v52, v1
	s_delay_alu instid0(VALU_DEP_1)
	v_sub_f16_e32 v43, v26, v27
	s_wait_dscnt 0x0
	v_lshrrev_b32_e32 v53, 16, v19
	v_lshrrev_b32_e32 v54, 16, v20
	v_mul_f16_e64 v150, v19, v138
	v_mul_f16_e64 v36, v20, v132
	s_delay_alu instid0(VALU_DEP_4) | instskip(NEXT) | instid1(VALU_DEP_3)
	v_mul_f16_e64 v31, v53, v138
	v_fmac_f16_e64 v150, v53, v6
	s_delay_alu instid0(VALU_DEP_3) | instskip(NEXT) | instid1(VALU_DEP_3)
	v_fmac_f16_e32 v36, v54, v2
	v_fma_f16 v149, v19, v6, -v31
	v_mul_f16_e64 v31, v54, v132
	s_delay_alu instid0(VALU_DEP_4) | instskip(NEXT) | instid1(VALU_DEP_4)
	v_add_f16_e64 v164, v164, v150
	v_sub_f16_e32 v48, v33, v36
	v_add_f16_e64 v167, v145, v150
	v_add_f16_e64 v163, v163, v149
	v_fma_f16 v37, v20, v2, -v31
	ds_load_2addr_b32 v[19:20], v86 offset1:160
	v_sub_f16_e64 v169, v144, v149
	v_fma_f16 v167, -0.5, v167, v122
	v_sub_f16_e64 v172, v145, v150
	v_sub_f16_e32 v49, v34, v37
	s_wait_dscnt 0x0
	v_lshrrev_b32_e32 v114, 16, v19
	v_lshrrev_b32_e32 v116, 16, v20
	v_mul_f16_e64 v152, v19, v139
	s_delay_alu instid0(VALU_DEP_3) | instskip(NEXT) | instid1(VALU_DEP_2)
	v_mul_f16_e64 v31, v114, v139
	v_fmac_f16_e64 v152, v114, v7
	v_add_f16_e32 v114, v120, v28
	s_delay_alu instid0(VALU_DEP_3) | instskip(SKIP_1) | instid1(VALU_DEP_4)
	v_fma_f16 v151, v19, v7, -v31
	v_mul_f16_e64 v31, v116, v135
	v_sub_f16_e64 v160, v152, v148
	v_sub_f16_e64 v175, v124, v152
	v_add_f16_e32 v114, v114, v32
	v_sub_f16_e64 v159, v151, v146
	v_fma_f16 v39, v20, v3, -v31
	v_mul_f16_e64 v31, v20, v135
	ds_load_2addr_b32 v[19:20], v88 offset0:64 offset1:224
	v_add_f16_e64 v156, v123, v151
	v_add_f16_e64 v158, v158, v159
	v_add_f16_e32 v21, v28, v39
	v_sub_f16_e32 v22, v35, v39
	v_fmac_f16_e32 v31, v116, v3
	v_add_f16_e32 v116, v23, v30
	v_sub_f16_e64 v159, v124, v141
	v_fma_f16 v156, -0.5, v156, v119
	v_sub_f16_e64 v178, v123, v151
	v_sub_f16_e32 v51, v25, v31
	global_wb scope:SCOPE_SE
	s_wait_dscnt 0x0
	v_add_f16_e64 v159, v159, v160
	v_sub_f16_e64 v160, v125, v144
	s_barrier_signal -1
	s_barrier_wait -1
	global_inv scope:SCOPE_SE
	v_add_f16_e32 v114, v114, v35
	v_lshrrev_b32_e32 v117, 16, v19
	v_lshrrev_b32_e32 v118, 16, v20
	v_mul_f16_e64 v154, v19, v115
	s_delay_alu instid0(VALU_DEP_3) | instskip(NEXT) | instid1(VALU_DEP_2)
	v_mul_f16_e32 v38, v117, v115
	v_fmac_f16_e64 v154, v117, v111
	s_delay_alu instid0(VALU_DEP_2) | instskip(SKIP_2) | instid1(VALU_DEP_4)
	v_fma_f16 v153, v19, v111, -v38
	v_mul_f16_e32 v38, v118, v110
	v_add_f16_e32 v19, v32, v35
	v_sub_f16_e64 v162, v154, v150
	v_add_f16_e64 v164, v164, v154
	v_sub_f16_e64 v161, v153, v149
	v_fma_f16 v40, v20, v109, -v38
	v_mul_f16_e32 v38, v20, v110
	v_fma_f16 v19, -0.5, v19, v120
	v_lshrrev_b32_e32 v20, 16, v120
	v_fmac_f16_e32 v120, -0.5, v21
	v_sub_f16_e32 v21, v32, v28
	v_fmac_f16_e32 v38, v118, v109
	v_add_f16_e32 v118, v24, v29
	v_sub_f16_e32 v117, v30, v40
	v_add_f16_e64 v160, v160, v161
	v_add_f16_e32 v44, v21, v22
	v_add_f16_e32 v21, v34, v37
	v_sub_f16_e32 v22, v37, v40
	v_sub_f16_e32 v54, v29, v38
	v_sub_f16_e64 v161, v137, v145
	v_add_f16_e64 v163, v163, v153
	v_fma_f16 v41, -0.5, v21, v23
	v_add_f16_e32 v21, v30, v40
	v_sub_f16_e64 v168, v125, v153
	v_add_f16_e64 v161, v161, v162
	v_sub_f16_e64 v171, v137, v154
	v_sub_f16_e64 v145, v145, v137
	v_fmac_f16_e32 v23, -0.5, v21
	v_sub_f16_e32 v21, v34, v30
	v_fma_f16 v170, 0xbb9c, v168, v167
	v_add_f16_e64 v137, v137, v154
	v_fmac_f16_e64 v167, 0x3b9c, v168
	v_fmamk_f16 v52, v48, 0xbb9c, v23
	v_add_f16_e32 v45, v21, v22
	v_add_f16_e32 v21, v33, v36
	v_fmac_f16_e32 v23, 0x3b9c, v48
	v_sub_f16_e32 v22, v36, v38
	v_fmac_f16_e64 v170, 0xb8b4, v169
	v_fmac_f16_e64 v122, -0.5, v137
	v_fma_f16 v42, -0.5, v21, v24
	v_add_f16_e32 v21, v29, v38
	v_fmac_f16_e32 v23, 0xb8b4, v54
	v_fmac_f16_e64 v170, 0x34f2, v161
	v_fmac_f16_e64 v167, 0x38b4, v169
	v_sub_f16_e32 v30, v30, v34
	v_fmac_f16_e32 v24, -0.5, v21
	v_sub_f16_e32 v21, v33, v29
	v_fmac_f16_e32 v23, 0x34f2, v45
	v_mul_f16_e64 v174, 0x38b4, v170
	v_fmac_f16_e64 v167, 0x34f2, v161
	v_fmamk_f16 v53, v49, 0x3b9c, v24
	v_fmac_f16_e32 v24, 0xbb9c, v49
	v_add_f16_e32 v50, v21, v22
	v_fmamk_f16 v21, v43, 0xbb9c, v120
	v_fmac_f16_e32 v120, 0x3b9c, v43
	v_add_f16_e64 v22, v140, v146
	v_fmac_f16_e32 v24, 0x38b4, v117
	v_sub_f16_e32 v29, v29, v33
	v_add_f16_e32 v18, v20, v25
	v_fmac_f16_e32 v120, 0xb8b4, v51
	v_fma_f16 v155, -0.5, v22, v119
	v_fmac_f16_e32 v24, 0x34f2, v50
	v_mul_f16_e32 v22, 0xb4f2, v23
	v_add_f16_e32 v18, v18, v26
	v_fmac_f16_e32 v120, 0x34f2, v44
	v_fma_f16 v177, 0x3b9c, v175, v155
	v_fmac_f16_e64 v155, 0xbb9c, v175
	v_fmac_f16_e32 v22, 0x3b9c, v24
	v_add_f16_e32 v18, v18, v27
	v_fmac_f16_e32 v53, 0xb8b4, v117
	v_fmac_f16_e64 v177, 0x38b4, v176
	v_fmac_f16_e64 v155, 0xb8b4, v176
	v_add_f16_e64 v157, v120, v22
	v_sub_f16_e32 v22, v120, v22
	v_lshrrev_b32_e32 v120, 16, v119
	v_add_f16_e32 v119, v119, v123
	v_sub_f16_e64 v123, v140, v123
	v_fmac_f16_e64 v155, 0x34f2, v158
	v_fmac_f16_e64 v177, 0x34f2, v158
	v_add_f16_e64 v162, v120, v124
	v_add_f16_e64 v119, v119, v140
	v_sub_f16_e64 v140, v146, v151
	v_add_f16_e32 v18, v18, v31
	v_fmac_f16_e32 v52, 0x38b4, v54
	v_add_f16_e64 v162, v162, v141
	v_add_f16_e64 v119, v119, v146
	;; [unrolled: 1-line block ×3, first 2 shown]
	v_fma_f16 v140, 0xbb9c, v176, v156
	v_fmac_f16_e64 v156, 0x3b9c, v176
	v_add_f16_e64 v162, v162, v148
	v_add_f16_e64 v119, v119, v151
	v_sub_f16_e64 v146, v148, v152
	v_fmac_f16_e64 v140, 0x38b4, v175
	v_fmac_f16_e64 v156, 0xb8b4, v175
	v_add_f16_e64 v162, v162, v152
	v_add_f16_e64 v165, v119, v163
	v_sub_f16_e64 v119, v119, v163
	v_fmac_f16_e64 v140, 0x34f2, v123
	v_fmac_f16_e64 v156, 0x34f2, v123
	v_add_f16_e64 v166, v162, v164
	v_fmac_f16_e32 v53, 0x34f2, v50
	v_fmac_f16_e32 v52, 0x34f2, v45
	;; [unrolled: 1-line block ×3, first 2 shown]
	v_mul_f16_e32 v24, 0xb4f2, v24
	v_pack_b32_f16 v165, v165, v166
	v_add_f16_e64 v166, v144, v149
	v_sub_f16_e64 v144, v144, v125
	v_add_f16_e64 v125, v125, v153
	v_fmac_f16_e32 v21, 0x34f2, v44
	v_fmac_f16_e32 v24, 0xbb9c, v23
	v_fma_f16 v166, -0.5, v166, v121
	s_delay_alu instid0(VALU_DEP_4) | instskip(NEXT) | instid1(VALU_DEP_2)
	v_fmac_f16_e32 v121, -0.5, v125
	v_fma_f16 v173, 0x3b9c, v171, v166
	v_fmac_f16_e64 v166, 0xbb9c, v171
	s_delay_alu instid0(VALU_DEP_3) | instskip(SKIP_1) | instid1(VALU_DEP_4)
	v_fma_f16 v123, 0xbb9c, v172, v121
	v_fmac_f16_e64 v121, 0x3b9c, v172
	v_fmac_f16_e64 v173, 0x38b4, v172
	s_delay_alu instid0(VALU_DEP_4) | instskip(NEXT) | instid1(VALU_DEP_4)
	v_fmac_f16_e64 v166, 0xb8b4, v172
	v_fmac_f16_e64 v123, 0x38b4, v171
	s_delay_alu instid0(VALU_DEP_4) | instskip(NEXT) | instid1(VALU_DEP_4)
	v_fmac_f16_e64 v121, 0xb8b4, v171
	v_fmac_f16_e64 v173, 0x34f2, v160
	s_delay_alu instid0(VALU_DEP_4) | instskip(NEXT) | instid1(VALU_DEP_2)
	v_fmac_f16_e64 v166, 0x34f2, v160
	v_fmac_f16_e64 v174, 0x3a79, v173
	v_mul_f16_e64 v173, 0xb8b4, v173
	s_delay_alu instid0(VALU_DEP_2) | instskip(NEXT) | instid1(VALU_DEP_2)
	v_add_f16_e64 v181, v177, v174
	v_fmac_f16_e64 v173, 0x3a79, v170
	v_add_f16_e64 v170, v141, v148
	v_sub_f16_e64 v148, v149, v153
	v_sub_f16_e64 v141, v141, v124
	v_add_f16_e64 v124, v124, v152
	v_sub_f16_e64 v149, v150, v154
	v_fma_f16 v170, -0.5, v170, v120
	v_add_f16_e64 v125, v144, v148
	s_delay_alu instid0(VALU_DEP_4) | instskip(NEXT) | instid1(VALU_DEP_4)
	v_fmac_f16_e32 v120, -0.5, v124
	v_add_f16_e64 v137, v145, v149
	v_add_f16_e64 v124, v141, v146
	s_delay_alu instid0(VALU_DEP_4)
	v_fmac_f16_e32 v123, 0x34f2, v125
	v_fmac_f16_e32 v121, 0x34f2, v125
	v_fma_f16 v125, 0x3b9c, v169, v122
	v_fmac_f16_e64 v122, 0xbb9c, v169
	v_fma_f16 v180, 0xbb9c, v178, v170
	v_fmac_f16_e64 v170, 0x3b9c, v178
	s_delay_alu instid0(VALU_DEP_4) | instskip(NEXT) | instid1(VALU_DEP_4)
	v_fmac_f16_e64 v125, 0xb8b4, v168
	v_fmac_f16_e64 v122, 0x38b4, v168
	s_delay_alu instid0(VALU_DEP_4) | instskip(NEXT) | instid1(VALU_DEP_4)
	v_fmac_f16_e64 v180, 0xb8b4, v179
	;; [unrolled: 3-line block ×3, first 2 shown]
	v_fmac_f16_e64 v122, 0x34f2, v137
	v_fma_f16 v137, 0x3b9c, v179, v120
	v_fmac_f16_e64 v120, 0xbb9c, v179
	v_fmac_f16_e64 v170, 0x34f2, v159
	;; [unrolled: 1-line block ×3, first 2 shown]
	s_delay_alu instid0(VALU_DEP_4) | instskip(NEXT) | instid1(VALU_DEP_4)
	v_fmac_f16_e64 v137, 0xb8b4, v178
	v_fmac_f16_e64 v120, 0x38b4, v178
	s_delay_alu instid0(VALU_DEP_3) | instskip(NEXT) | instid1(VALU_DEP_3)
	v_add_f16_e64 v182, v180, v173
	v_fmac_f16_e64 v137, 0x34f2, v124
	s_delay_alu instid0(VALU_DEP_3) | instskip(SKIP_1) | instid1(VALU_DEP_4)
	v_fmac_f16_e32 v120, 0x34f2, v124
	v_mul_f16_e32 v124, 0x3b9c, v125
	v_pack_b32_f16 v181, v181, v182
	s_delay_alu instid0(VALU_DEP_2) | instskip(SKIP_4) | instid1(VALU_DEP_2)
	v_fmac_f16_e32 v124, 0x34f2, v123
	v_mul_f16_e32 v123, 0xbb9c, v123
	ds_store_2addr_b32 v108, v165, v181 offset1:10
	v_fmac_f16_e32 v123, 0x34f2, v125
	v_mul_f16_e32 v125, 0xb4f2, v121
	v_add_f16_e64 v141, v137, v123
	s_delay_alu instid0(VALU_DEP_2) | instskip(SKIP_2) | instid1(VALU_DEP_2)
	v_fmac_f16_e32 v125, 0x3b9c, v122
	v_mul_f16_e32 v122, 0xb4f2, v122
	v_sub_f16_e64 v123, v137, v123
	v_fmac_f16_e32 v122, 0xbb9c, v121
	v_add_f16_e64 v121, v140, v124
	v_sub_f16_e64 v124, v140, v124
	v_sub_f16_e64 v140, v180, v173
	s_delay_alu instid0(VALU_DEP_4) | instskip(NEXT) | instid1(VALU_DEP_4)
	v_add_f16_e64 v144, v120, v122
	v_pack_b32_f16 v121, v121, v141
	v_add_f16_e64 v141, v156, v125
	v_pack_b32_f16 v123, v124, v123
	v_sub_f16_e32 v120, v120, v122
	s_delay_alu instid0(VALU_DEP_3)
	v_pack_b32_f16 v141, v141, v144
	v_sub_f16_e64 v144, v162, v164
	ds_store_2addr_b32 v108, v121, v141 offset0:20 offset1:30
	v_mul_f16_e64 v121, 0xba79, v166
	v_mul_f16_e64 v141, 0xba79, v167
	v_pack_b32_f16 v119, v119, v144
	s_delay_alu instid0(VALU_DEP_3) | instskip(NEXT) | instid1(VALU_DEP_3)
	v_fmac_f16_e64 v121, 0x38b4, v167
	v_fmac_f16_e64 v141, 0xb8b4, v166
	s_delay_alu instid0(VALU_DEP_2) | instskip(NEXT) | instid1(VALU_DEP_2)
	v_add_f16_e64 v145, v155, v121
	v_add_f16_e64 v146, v170, v141
	v_sub_f16_e64 v121, v155, v121
	v_sub_f16_e64 v122, v170, v141
	s_delay_alu instid0(VALU_DEP_3) | instskip(SKIP_2) | instid1(VALU_DEP_1)
	v_pack_b32_f16 v145, v145, v146
	ds_store_2addr_b32 v108, v145, v119 offset0:40 offset1:50
	v_sub_f16_e64 v119, v177, v174
	v_pack_b32_f16 v119, v119, v140
	ds_store_2addr_b32 v108, v119, v123 offset0:60 offset1:70
	v_sub_f16_e64 v119, v156, v125
	s_delay_alu instid0(VALU_DEP_1)
	v_pack_b32_f16 v119, v119, v120
	v_pack_b32_f16 v120, v121, v122
	ds_store_2addr_b32 v108, v119, v120 offset0:80 offset1:90
	v_sub_f16_e32 v119, v28, v32
	v_sub_f16_e32 v120, v39, v35
	v_sub_f16_e32 v28, v28, v39
	v_sub_f16_e32 v32, v32, v35
	v_sub_f16_e32 v35, v25, v26
	s_delay_alu instid0(VALU_DEP_4) | instskip(SKIP_2) | instid1(VALU_DEP_1)
	v_add_f16_e32 v119, v119, v120
	v_add_f16_e32 v120, v114, v39
	v_sub_f16_e32 v39, v31, v27
	v_add_f16_e32 v35, v35, v39
	v_add_f16_e32 v39, v116, v34
	s_delay_alu instid0(VALU_DEP_1) | instskip(SKIP_2) | instid1(VALU_DEP_3)
	v_add_f16_e32 v34, v39, v37
	v_add_f16_e32 v39, v118, v33
	v_sub_f16_e32 v37, v40, v37
	v_add_f16_e32 v34, v34, v40
	s_delay_alu instid0(VALU_DEP_3) | instskip(SKIP_1) | instid1(VALU_DEP_4)
	v_add_f16_e32 v33, v39, v36
	v_sub_f16_e32 v36, v38, v36
	v_add_f16_e32 v30, v30, v37
	v_fmamk_f16 v37, v54, 0x3b9c, v41
	v_fmamk_f16 v40, v51, 0x3b9c, v19
	v_add_f16_e32 v33, v33, v38
	v_add_f16_e32 v29, v29, v36
	v_fmamk_f16 v36, v117, 0xbb9c, v42
	v_fmac_f16_e32 v37, 0x38b4, v48
	v_fmac_f16_e32 v40, 0x38b4, v43
	v_add_f16_e32 v39, v18, v33
	v_fmac_f16_e32 v41, 0xbb9c, v54
	v_fmac_f16_e32 v36, 0xb8b4, v49
	;; [unrolled: 1-line block ×8, first 2 shown]
	v_sub_f16_e32 v18, v18, v33
	v_fmac_f16_e32 v42, 0x38b4, v49
	v_fmac_f16_e32 v41, 0x34f2, v30
	v_mul_f16_e32 v38, 0x38b4, v36
	v_fmac_f16_e32 v19, 0xb8b4, v43
	s_delay_alu instid0(VALU_DEP_4) | instskip(NEXT) | instid1(VALU_DEP_3)
	v_fmac_f16_e32 v42, 0x34f2, v29
	v_fmac_f16_e32 v38, 0x3a79, v37
	v_mul_f16_e32 v37, 0xb8b4, v37
	s_delay_alu instid0(VALU_DEP_4) | instskip(NEXT) | instid1(VALU_DEP_3)
	v_fmac_f16_e32 v19, 0x34f2, v119
	v_add_f16_e32 v114, v40, v38
	s_delay_alu instid0(VALU_DEP_3) | instskip(SKIP_1) | instid1(VALU_DEP_1)
	v_fmac_f16_e32 v37, 0x3a79, v36
	v_add_f16_e32 v36, v120, v34
	v_pack_b32_f16 v36, v36, v39
	v_add_f16_e32 v39, v26, v27
	s_delay_alu instid0(VALU_DEP_1) | instskip(NEXT) | instid1(VALU_DEP_1)
	v_fma_f16 v39, -0.5, v39, v20
	v_fmamk_f16 v116, v28, 0xbb9c, v39
	v_fmac_f16_e32 v39, 0x3b9c, v28
	s_delay_alu instid0(VALU_DEP_2) | instskip(NEXT) | instid1(VALU_DEP_2)
	v_fmac_f16_e32 v116, 0xb8b4, v32
	v_fmac_f16_e32 v39, 0x38b4, v32
	s_delay_alu instid0(VALU_DEP_2) | instskip(NEXT) | instid1(VALU_DEP_2)
	v_fmac_f16_e32 v116, 0x34f2, v35
	v_fmac_f16_e32 v39, 0x34f2, v35
	s_delay_alu instid0(VALU_DEP_2) | instskip(NEXT) | instid1(VALU_DEP_1)
	v_add_f16_e32 v118, v116, v37
	v_pack_b32_f16 v118, v114, v118
	v_lshlrev_b32_e32 v114, 2, v17
	v_sub_f16_e32 v17, v26, v25
	v_add_f16_e32 v25, v25, v31
	v_sub_f16_e32 v26, v27, v31
	ds_store_2addr_b32 v114, v36, v118 offset1:10
	v_fmac_f16_e32 v20, -0.5, v25
	v_add_f16_e32 v17, v17, v26
	v_mul_f16_e32 v26, 0xbb9c, v52
	s_delay_alu instid0(VALU_DEP_3) | instskip(SKIP_1) | instid1(VALU_DEP_3)
	v_fmamk_f16 v25, v32, 0x3b9c, v20
	v_fmac_f16_e32 v20, 0xbb9c, v32
	v_fmac_f16_e32 v26, 0x34f2, v53
	s_delay_alu instid0(VALU_DEP_3) | instskip(NEXT) | instid1(VALU_DEP_3)
	v_fmac_f16_e32 v25, 0xb8b4, v28
	v_fmac_f16_e32 v20, 0x38b4, v28
	v_sub_f16_e32 v28, v120, v34
	s_delay_alu instid0(VALU_DEP_3) | instskip(NEXT) | instid1(VALU_DEP_3)
	v_fmac_f16_e32 v25, 0x34f2, v17
	v_fmac_f16_e32 v20, 0x34f2, v17
	v_mul_f16_e32 v17, 0x3b9c, v53
	s_delay_alu instid0(VALU_DEP_4) | instskip(NEXT) | instid1(VALU_DEP_4)
	v_pack_b32_f16 v18, v28, v18
	v_add_f16_e32 v27, v25, v26
	v_sub_f16_e32 v25, v25, v26
	s_delay_alu instid0(VALU_DEP_4) | instskip(NEXT) | instid1(VALU_DEP_1)
	v_fmac_f16_e32 v17, 0x34f2, v52
	v_add_f16_e32 v23, v21, v17
	v_sub_f16_e32 v17, v21, v17
	v_sub_f16_e32 v21, v116, v37
	s_delay_alu instid0(VALU_DEP_3) | instskip(SKIP_1) | instid1(VALU_DEP_4)
	v_pack_b32_f16 v23, v23, v27
	v_add_f16_e32 v27, v20, v24
	v_pack_b32_f16 v17, v17, v25
	s_delay_alu instid0(VALU_DEP_2) | instskip(SKIP_3) | instid1(VALU_DEP_2)
	v_pack_b32_f16 v27, v157, v27
	ds_store_2addr_b32 v114, v23, v27 offset0:20 offset1:30
	v_mul_f16_e32 v23, 0xba79, v41
	v_mul_f16_e32 v27, 0xba79, v42
	v_fmac_f16_e32 v23, 0x38b4, v42
	s_delay_alu instid0(VALU_DEP_2) | instskip(NEXT) | instid1(VALU_DEP_2)
	v_fmac_f16_e32 v27, 0xb8b4, v41
	v_add_f16_e32 v29, v19, v23
	s_delay_alu instid0(VALU_DEP_2) | instskip(NEXT) | instid1(VALU_DEP_1)
	v_add_f16_e32 v30, v39, v27
	v_pack_b32_f16 v29, v29, v30
	ds_store_2addr_b32 v114, v29, v18 offset0:40 offset1:50
	v_sub_f16_e32 v18, v40, v38
	s_delay_alu instid0(VALU_DEP_1) | instskip(SKIP_4) | instid1(VALU_DEP_2)
	v_pack_b32_f16 v18, v18, v21
	ds_store_2addr_b32 v114, v18, v17 offset0:60 offset1:70
	v_sub_f16_e32 v17, v19, v23
	v_sub_f16_e32 v19, v39, v27
	;; [unrolled: 1-line block ×3, first 2 shown]
	v_pack_b32_f16 v17, v17, v19
	v_add_nc_u16 v19, v47, 0x1e0
	s_delay_alu instid0(VALU_DEP_3) | instskip(SKIP_1) | instid1(VALU_DEP_3)
	v_pack_b32_f16 v18, v22, v18
	v_add_co_u32 v22, null, 0x140, v100
	v_lshrrev_b16 v20, 2, v19
	ds_store_2addr_b32 v114, v18, v17 offset0:80 offset1:90
	v_lshrrev_b16 v17, 2, v16
	global_wb scope:SCOPE_SE
	s_wait_dscnt 0x0
	s_barrier_signal -1
	v_and_b32_e32 v20, 0xffff, v20
	s_barrier_wait -1
	v_and_b32_e32 v17, 0xffff, v17
	global_inv scope:SCOPE_SE
	v_mul_u32_u24_e32 v20, 0x147b, v20
	v_mul_u32_u24_e32 v17, 0x147b, v17
	s_delay_alu instid0(VALU_DEP_2) | instskip(NEXT) | instid1(VALU_DEP_2)
	v_lshrrev_b32_e32 v125, 17, v20
	v_lshrrev_b32_e32 v54, 17, v17
	s_delay_alu instid0(VALU_DEP_2) | instskip(NEXT) | instid1(VALU_DEP_2)
	v_mul_lo_u16 v20, 0x64, v125
	v_mul_lo_u16 v17, 0x64, v54
	s_delay_alu instid0(VALU_DEP_2) | instskip(SKIP_1) | instid1(VALU_DEP_3)
	v_sub_nc_u16 v137, v19, v20
	v_add_nc_u16 v19, v47, 0x280
	v_sub_nc_u16 v120, v16, v17
	v_add_nc_u32_e32 v16, 0xffffff9c, v100
	s_delay_alu instid0(VALU_DEP_3) | instskip(NEXT) | instid1(VALU_DEP_2)
	v_lshrrev_b16 v20, 2, v19
	v_cndmask_b32_e32 v18, v16, v100, vcc_lo
	s_delay_alu instid0(VALU_DEP_2) | instskip(NEXT) | instid1(VALU_DEP_2)
	v_and_b32_e32 v20, 0xffff, v20
	v_mul_i32_i24_e32 v16, 12, v18
	v_mul_hi_i32_i24_e32 v17, 12, v18
	s_delay_alu instid0(VALU_DEP_3) | instskip(NEXT) | instid1(VALU_DEP_3)
	v_mul_u32_u24_e32 v20, 0x147b, v20
	v_add_co_u32 v16, vcc_lo, s6, v16
	s_wait_alu 0xfffd
	s_delay_alu instid0(VALU_DEP_3) | instskip(NEXT) | instid1(VALU_DEP_3)
	v_add_co_ci_u32_e32 v17, vcc_lo, s7, v17, vcc_lo
	v_lshrrev_b32_e32 v23, 17, v20
	v_cmp_lt_u16_e32 vcc_lo, 0x63, v47
	s_delay_alu instid0(VALU_DEP_2) | instskip(NEXT) | instid1(VALU_DEP_1)
	v_mul_lo_u16 v20, 0x64, v23
	v_sub_nc_u16 v24, v19, v20
	s_wait_alu 0xfffd
	v_cndmask_b32_e64 v19, 0, 0x190, vcc_lo
	v_cmp_gt_u16_e32 vcc_lo, 0x50, v47
	s_delay_alu instid0(VALU_DEP_3) | instskip(NEXT) | instid1(VALU_DEP_3)
	v_mad_u16 v23, 0x190, v23, v24
	v_add_lshl_u32 v116, v18, v19, 2
	v_lshrrev_b16 v18, 2, v22
	s_delay_alu instid0(VALU_DEP_3) | instskip(NEXT) | instid1(VALU_DEP_2)
	v_and_b32_e32 v23, 0xffff, v23
	v_and_b32_e32 v18, 0xffff, v18
	s_delay_alu instid0(VALU_DEP_1) | instskip(NEXT) | instid1(VALU_DEP_1)
	v_mul_u32_u24_e32 v18, 0x147b, v18
	v_lshrrev_b32_e32 v123, 17, v18
	s_delay_alu instid0(VALU_DEP_1) | instskip(NEXT) | instid1(VALU_DEP_1)
	v_mul_lo_u16 v18, 0x64, v123
	v_sub_nc_u16 v124, v22, v18
	v_mul_lo_u16 v18, v120, 12
	s_delay_alu instid0(VALU_DEP_2) | instskip(NEXT) | instid1(VALU_DEP_2)
	v_mul_lo_u16 v19, v124, 12
	v_and_b32_e32 v18, 0xffff, v18
	s_delay_alu instid0(VALU_DEP_2) | instskip(NEXT) | instid1(VALU_DEP_2)
	v_and_b32_e32 v21, 0xffff, v19
	v_add_co_u32 v19, s2, s6, v18
	v_mul_lo_u16 v18, v137, 12
	s_wait_alu 0xf1ff
	v_add_co_ci_u32_e64 v20, null, s7, 0, s2
	v_add_co_u32 v28, s2, s6, v21
	s_delay_alu instid0(VALU_DEP_3) | instskip(SKIP_3) | instid1(VALU_DEP_3)
	v_and_b32_e32 v18, 0xffff, v18
	s_wait_alu 0xf1ff
	v_add_co_ci_u32_e64 v29, null, s7, 0, s2
	v_mul_lo_u16 v21, v24, 12
	v_add_co_u32 v34, s2, s6, v18
	s_clause 0x1
	global_load_b96 v[16:18], v[16:17], off offset:360
	global_load_b96 v[25:27], v[19:20], off offset:360
	ds_load_2addr_b32 v[38:39], v105 offset1:160
	ds_load_2addr_b32 v[40:41], v92 offset0:64 offset1:224
	ds_load_2addr_b32 v[42:43], v91 offset0:64 offset1:224
	v_and_b32_e32 v21, 0xffff, v21
	s_wait_alu 0xf1ff
	v_add_co_ci_u32_e64 v35, null, s7, 0, s2
	s_delay_alu instid0(VALU_DEP_2)
	v_add_co_u32 v36, s2, s6, v21
	s_wait_alu 0xf1ff
	v_add_co_ci_u32_e64 v37, null, s7, 0, s2
	s_add_nc_u64 s[2:3], s[4:5], 0x3200
	s_wait_dscnt 0x2
	v_lshrrev_b32_e32 v19, 16, v39
	s_wait_loadcnt 0x1
	v_lshrrev_b32_e32 v117, 16, v16
	v_lshrrev_b32_e32 v119, 16, v17
	;; [unrolled: 1-line block ×3, first 2 shown]
	s_wait_loadcnt 0x0
	v_lshrrev_b32_e32 v156, 16, v26
	v_lshrrev_b32_e32 v165, 16, v25
	v_mul_f16_e32 v118, v39, v117
	v_mul_f16_e32 v122, v19, v117
	s_wait_dscnt 0x1
	v_mul_f16_e64 v140, v40, v119
	s_wait_dscnt 0x0
	v_mul_f16_e64 v146, v43, v121
	v_lshrrev_b32_e32 v159, 16, v27
	v_fmac_f16_e32 v118, v19, v16
	v_lshrrev_b32_e32 v19, 16, v40
	v_fma_f16 v39, v39, v16, -v122
	s_delay_alu instid0(VALU_DEP_2) | instskip(SKIP_2) | instid1(VALU_DEP_2)
	v_fmac_f16_e64 v140, v19, v17
	v_mul_f16_e64 v141, v19, v119
	v_lshrrev_b32_e32 v19, 16, v43
	v_fma_f16 v40, v40, v17, -v141
	s_delay_alu instid0(VALU_DEP_2)
	v_fmac_f16_e64 v146, v19, v18
	v_mul_f16_e64 v148, v19, v121
	s_clause 0x2
	global_load_b96 v[31:33], v[28:29], off offset:360
	global_load_b96 v[28:30], v[34:35], off offset:360
	;; [unrolled: 1-line block ×3, first 2 shown]
	ds_load_2addr_b32 v[34:35], v104 offset1:160
	ds_load_2addr_b32 v[36:37], v106 offset0:64 offset1:224
	ds_load_2addr_b32 v[44:45], v86 offset1:160
	ds_load_2addr_b32 v[48:49], v87 offset1:160
	ds_load_2addr_b32 v[50:51], v107 offset0:64 offset1:224
	ds_load_2addr_b32 v[52:53], v103 offset1:160
	ds_load_2addr_b32 v[144:145], v88 offset0:64 offset1:224
	global_wb scope:SCOPE_SE
	s_wait_loadcnt_dscnt 0x0
	v_sub_f16_e64 v141, v118, v146
	v_fma_f16 v43, v43, v18, -v148
	s_barrier_signal -1
	s_barrier_wait -1
	global_inv scope:SCOPE_SE
	v_fma_f16 v118, v118, 2.0, -v141
	v_sub_f16_e32 v43, v39, v43
	s_delay_alu instid0(VALU_DEP_1) | instskip(SKIP_2) | instid1(VALU_DEP_2)
	v_fma_f16 v39, v39, 2.0, -v43
	v_lshrrev_b32_e32 v122, 16, v34
	v_sub_f16_e32 v40, v34, v40
	v_sub_f16_e64 v140, v122, v140
	s_delay_alu instid0(VALU_DEP_2) | instskip(SKIP_1) | instid1(VALU_DEP_3)
	v_fma_f16 v34, v34, 2.0, -v40
	v_sub_f16_e64 v141, v40, v141
	v_fma_f16 v122, v122, 2.0, -v140
	v_add_f16_e64 v43, v140, v43
	s_delay_alu instid0(VALU_DEP_4) | instskip(NEXT) | instid1(VALU_DEP_4)
	v_sub_f16_e32 v39, v34, v39
	v_fma_f16 v40, v40, 2.0, -v141
	s_delay_alu instid0(VALU_DEP_4) | instskip(NEXT) | instid1(VALU_DEP_4)
	v_sub_f16_e64 v146, v122, v118
	v_pack_b32_f16 v148, v141, v43
	v_fma_f16 v43, v140, 2.0, -v43
	v_fma_f16 v34, v34, 2.0, -v39
	v_add_nc_u32_e32 v118, 0x200, v116
	v_pack_b32_f16 v149, v39, v146
	v_fma_f16 v39, v122, 2.0, -v146
	v_pack_b32_f16 v40, v40, v43
	v_lshrrev_b32_e32 v43, 16, v36
	v_mul_f16_e64 v122, v44, v159
	ds_store_2addr_b32 v118, v149, v148 offset0:72 offset1:172
	v_pack_b32_f16 v34, v34, v39
	v_lshlrev_b32_e32 v148, 2, v23
	ds_store_2addr_b32 v116, v34, v40 offset1:100
	v_lshrrev_b32_e32 v34, 16, v41
	v_mul_f16_e64 v40, v41, v156
	v_add_nc_u32_e32 v152, 0x200, v148
	s_delay_alu instid0(VALU_DEP_3) | instskip(NEXT) | instid1(VALU_DEP_3)
	v_mul_f16_e64 v39, v34, v156
	v_fmac_f16_e32 v40, v34, v26
	s_delay_alu instid0(VALU_DEP_2) | instskip(SKIP_3) | instid1(VALU_DEP_4)
	v_fma_f16 v39, v41, v26, -v39
	v_mad_u16 v41, 0x190, v54, v120
	v_mul_f16_e64 v54, v36, v165
	v_lshrrev_b32_e32 v120, 16, v44
	v_sub_f16_e32 v34, v35, v39
	v_lshrrev_b32_e32 v39, 16, v35
	s_delay_alu instid0(VALU_DEP_4)
	v_fmac_f16_e32 v54, v43, v25
	v_mul_f16_e64 v43, v43, v165
	v_fmac_f16_e32 v122, v120, v27
	v_mul_f16_e64 v120, v120, v159
	v_sub_f16_e32 v40, v39, v40
	v_fma_f16 v35, v35, 2.0, -v34
	v_fma_f16 v36, v36, v25, -v43
	s_delay_alu instid0(VALU_DEP_4) | instskip(SKIP_2) | instid1(VALU_DEP_3)
	v_fma_f16 v43, v44, v27, -v120
	v_sub_f16_e32 v44, v54, v122
	v_fma_f16 v39, v39, 2.0, -v40
	v_sub_f16_e32 v43, v36, v43
	s_delay_alu instid0(VALU_DEP_3) | instskip(SKIP_1) | instid1(VALU_DEP_3)
	v_fma_f16 v54, v54, 2.0, -v44
	v_sub_f16_e32 v44, v34, v44
	v_fma_f16 v36, v36, 2.0, -v43
	v_add_f16_e32 v43, v40, v43
	s_delay_alu instid0(VALU_DEP_3) | instskip(NEXT) | instid1(VALU_DEP_3)
	v_fma_f16 v34, v34, 2.0, -v44
	v_sub_f16_e32 v36, v35, v36
	s_delay_alu instid0(VALU_DEP_3) | instskip(NEXT) | instid1(VALU_DEP_2)
	v_fma_f16 v40, v40, 2.0, -v43
	v_fma_f16 v35, v35, 2.0, -v36
	s_delay_alu instid0(VALU_DEP_2) | instskip(SKIP_1) | instid1(VALU_DEP_1)
	v_pack_b32_f16 v34, v34, v40
	v_sub_f16_e32 v40, v39, v54
	v_fma_f16 v39, v39, 2.0, -v40
	s_delay_alu instid0(VALU_DEP_1) | instskip(SKIP_1) | instid1(VALU_DEP_1)
	v_pack_b32_f16 v35, v35, v39
	v_and_b32_e32 v39, 0xffff, v41
	v_lshlrev_b32_e32 v120, 2, v39
	ds_store_2addr_b32 v120, v35, v34 offset1:100
	v_pack_b32_f16 v34, v44, v43
	v_pack_b32_f16 v35, v36, v40
	v_add_nc_u32_e32 v122, 0x200, v120
	v_lshrrev_b32_e32 v43, 16, v50
	ds_store_2addr_b32 v122, v35, v34 offset0:72 offset1:172
	v_lshrrev_b32_e32 v34, 16, v37
	v_lshrrev_b32_e32 v158, 16, v31
	;; [unrolled: 1-line block ×6, first 2 shown]
	v_mul_f16_e64 v35, v34, v158
	v_mul_f16_e64 v36, v37, v158
	;; [unrolled: 1-line block ×4, first 2 shown]
	v_lshrrev_b32_e32 v166, 16, v30
	v_fma_f16 v35, v37, v31, -v35
	v_lshrrev_b32_e32 v37, 16, v45
	v_fmac_f16_e32 v36, v34, v31
	v_mad_u16 v34, 0x190, v123, v124
	v_lshrrev_b32_e32 v169, 16, v20
	v_lshrrev_b32_e32 v171, 16, v19
	v_mul_f16_e64 v39, v37, v157
	v_fmac_f16_e32 v40, v37, v33
	v_lshrrev_b32_e32 v37, 16, v48
	v_and_b32_e32 v34, 0xffff, v34
	v_lshrrev_b32_e32 v170, 16, v21
	v_fma_f16 v39, v45, v33, -v39
	v_sub_f16_e32 v40, v36, v40
	v_fmac_f16_e32 v41, v37, v32
	v_mul_f16_e64 v37, v37, v161
	v_lshlrev_b32_e32 v124, 2, v34
	v_sub_f16_e32 v39, v35, v39
	v_fma_f16 v36, v36, 2.0, -v40
	v_sub_f16_e32 v41, v43, v41
	v_fma_f16 v37, v48, v32, -v37
	v_add_nc_u32_e32 v123, 0x200, v124
	v_fma_f16 v35, v35, 2.0, -v39
	s_delay_alu instid0(VALU_DEP_4) | instskip(NEXT) | instid1(VALU_DEP_4)
	v_fma_f16 v43, v43, 2.0, -v41
	v_sub_f16_e32 v37, v50, v37
	v_add_f16_e32 v39, v41, v39
	s_delay_alu instid0(VALU_DEP_3) | instskip(NEXT) | instid1(VALU_DEP_3)
	v_sub_f16_e32 v36, v43, v36
	v_fma_f16 v44, v50, 2.0, -v37
	v_sub_f16_e32 v40, v37, v40
	s_delay_alu instid0(VALU_DEP_4) | instskip(NEXT) | instid1(VALU_DEP_4)
	v_fma_f16 v41, v41, 2.0, -v39
	v_fma_f16 v43, v43, 2.0, -v36
	s_delay_alu instid0(VALU_DEP_4) | instskip(NEXT) | instid1(VALU_DEP_4)
	v_sub_f16_e32 v35, v44, v35
	v_fma_f16 v37, v37, 2.0, -v40
	s_delay_alu instid0(VALU_DEP_2) | instskip(SKIP_2) | instid1(VALU_DEP_4)
	v_fma_f16 v44, v44, 2.0, -v35
	v_pack_b32_f16 v34, v35, v36
	v_pack_b32_f16 v35, v40, v39
	;; [unrolled: 1-line block ×3, first 2 shown]
	v_lshrrev_b32_e32 v40, 16, v52
	v_pack_b32_f16 v43, v44, v43
	v_mul_f16_e64 v41, v52, v168
	ds_store_2addr_b32 v123, v34, v35 offset0:72 offset1:172
	v_lshrrev_b32_e32 v34, 16, v49
	v_mul_f16_e64 v44, v144, v166
	ds_store_2addr_b32 v124, v43, v37 offset1:100
	v_lshrrev_b32_e32 v43, 16, v144
	v_mul_f16_e64 v36, v49, v167
	v_mul_f16_e64 v35, v34, v167
	v_fmac_f16_e32 v41, v40, v28
	v_mul_f16_e64 v40, v40, v168
	v_fmac_f16_e32 v44, v43, v30
	v_mul_f16_e64 v43, v43, v166
	v_fma_f16 v35, v49, v29, -v35
	v_fmac_f16_e32 v36, v34, v29
	v_fma_f16 v40, v52, v28, -v40
	v_sub_f16_e32 v44, v41, v44
	v_fma_f16 v43, v144, v30, -v43
	v_sub_f16_e32 v34, v51, v35
	v_lshrrev_b32_e32 v35, 16, v51
	v_mad_u16 v39, 0x190, v125, v137
	v_fma_f16 v41, v41, 2.0, -v44
	v_sub_f16_e32 v43, v40, v43
	v_fma_f16 v37, v51, 2.0, -v34
	v_sub_f16_e32 v36, v35, v36
	s_delay_alu instid0(VALU_DEP_3) | instskip(NEXT) | instid1(VALU_DEP_2)
	v_fma_f16 v40, v40, 2.0, -v43
	v_fma_f16 v35, v35, 2.0, -v36
	v_add_f16_e32 v43, v36, v43
	s_delay_alu instid0(VALU_DEP_3) | instskip(NEXT) | instid1(VALU_DEP_3)
	v_sub_f16_e32 v40, v37, v40
	v_sub_f16_e32 v41, v35, v41
	s_delay_alu instid0(VALU_DEP_3) | instskip(NEXT) | instid1(VALU_DEP_3)
	v_fma_f16 v36, v36, 2.0, -v43
	v_fma_f16 v37, v37, 2.0, -v40
	s_delay_alu instid0(VALU_DEP_3) | instskip(NEXT) | instid1(VALU_DEP_1)
	v_fma_f16 v35, v35, 2.0, -v41
	v_pack_b32_f16 v35, v37, v35
	v_sub_f16_e32 v37, v34, v44
	s_delay_alu instid0(VALU_DEP_1) | instskip(NEXT) | instid1(VALU_DEP_1)
	v_fma_f16 v34, v34, 2.0, -v37
	v_pack_b32_f16 v34, v34, v36
	v_and_b32_e32 v36, 0xffff, v39
	s_delay_alu instid0(VALU_DEP_1)
	v_lshlrev_b32_e32 v137, 2, v36
	v_mul_f16_e64 v36, v42, v169
	ds_store_2addr_b32 v137, v35, v34 offset1:100
	v_pack_b32_f16 v34, v40, v41
	v_pack_b32_f16 v35, v37, v43
	v_add_nc_u32_e32 v141, 0x200, v137
	v_lshrrev_b32_e32 v37, 16, v53
	v_lshrrev_b32_e32 v41, 16, v145
	v_mul_f16_e64 v40, v53, v171
	v_mul_f16_e64 v43, v145, v170
	ds_store_2addr_b32 v141, v34, v35 offset0:72 offset1:172
	v_lshrrev_b32_e32 v34, 16, v42
	v_mul_f16_e64 v39, v37, v171
	v_fmac_f16_e32 v40, v37, v19
	v_fmac_f16_e32 v43, v41, v21
	s_delay_alu instid0(VALU_DEP_4) | instskip(NEXT) | instid1(VALU_DEP_4)
	v_mul_f16_e64 v35, v34, v169
	v_fma_f16 v39, v53, v19, -v39
	v_fmac_f16_e32 v36, v34, v20
	s_delay_alu instid0(VALU_DEP_3) | instskip(SKIP_1) | instid1(VALU_DEP_2)
	v_fma_f16 v35, v42, v20, -v35
	v_mul_f16_e64 v42, v41, v170
	v_sub_f16_e32 v34, v38, v35
	s_delay_alu instid0(VALU_DEP_2) | instskip(SKIP_1) | instid1(VALU_DEP_3)
	v_fma_f16 v42, v145, v21, -v42
	v_lshrrev_b32_e32 v35, 16, v38
	v_fma_f16 v37, v38, 2.0, -v34
	v_sub_f16_e32 v38, v40, v43
	s_delay_alu instid0(VALU_DEP_3) | instskip(SKIP_1) | instid1(VALU_DEP_3)
	v_sub_f16_e32 v24, v35, v36
	v_sub_f16_e32 v36, v39, v42
	v_fma_f16 v40, v40, 2.0, -v38
	s_delay_alu instid0(VALU_DEP_3) | instskip(NEXT) | instid1(VALU_DEP_3)
	v_fma_f16 v35, v35, 2.0, -v24
	v_fma_f16 v39, v39, 2.0, -v36
	v_add_f16_e32 v36, v24, v36
	s_delay_alu instid0(VALU_DEP_3) | instskip(NEXT) | instid1(VALU_DEP_3)
	v_sub_f16_e32 v40, v35, v40
	v_sub_f16_e32 v39, v37, v39
	s_delay_alu instid0(VALU_DEP_3) | instskip(NEXT) | instid1(VALU_DEP_3)
	v_fma_f16 v24, v24, 2.0, -v36
	v_fma_f16 v35, v35, 2.0, -v40
	s_delay_alu instid0(VALU_DEP_3) | instskip(SKIP_1) | instid1(VALU_DEP_2)
	v_fma_f16 v37, v37, 2.0, -v39
	v_pack_b32_f16 v23, v39, v40
	v_pack_b32_f16 v35, v37, v35
	v_sub_f16_e32 v37, v34, v38
	s_delay_alu instid0(VALU_DEP_1) | instskip(NEXT) | instid1(VALU_DEP_1)
	v_fma_f16 v34, v34, 2.0, -v37
	v_pack_b32_f16 v24, v34, v24
	ds_store_2addr_b32 v148, v35, v24 offset1:100
	v_pack_b32_f16 v24, v37, v36
	v_mad_co_u64_u32 v[34:35], null, v100, 12, s[6:7]
	ds_store_2addr_b32 v152, v23, v24 offset0:72 offset1:172
	v_add_nc_u32_e32 v23, 0xffffffb0, v100
	global_wb scope:SCOPE_SE
	s_wait_dscnt 0x0
	s_barrier_signal -1
	s_barrier_wait -1
	global_inv scope:SCOPE_SE
	s_wait_alu 0xfffd
	v_cndmask_b32_e32 v48, v23, v22, vcc_lo
	ds_load_2addr_b32 v[43:44], v92 offset0:64 offset1:224
	s_clause 0x1
	global_load_b96 v[22:24], v[34:35], off offset:1560
	global_load_b96 v[37:39], v[34:35], off offset:2520
	s_wait_dscnt 0x0
	v_lshrrev_b32_e32 v45, 16, v43
	v_lshrrev_b32_e32 v49, 16, v44
	s_wait_loadcnt 0x1
	v_lshrrev_b32_e32 v151, 16, v23
	v_lshrrev_b32_e32 v154, 16, v22
	;; [unrolled: 1-line block ×3, first 2 shown]
	s_wait_loadcnt 0x0
	v_lshrrev_b32_e32 v192, 16, v38
	v_lshrrev_b32_e32 v193, 16, v37
	v_mul_f16_e64 v36, v45, v151
	v_mul_f16_e64 v53, v43, v151
	v_lshrrev_b32_e32 v191, 16, v39
	s_delay_alu instid0(VALU_DEP_3)
	v_fma_f16 v51, v43, v23, -v36
	s_clause 0x1
	global_load_b96 v[40:42], v[34:35], off offset:3480
	global_load_b96 v[34:36], v[34:35], off offset:4440
	v_fmac_f16_e32 v53, v45, v23
	v_mul_i32_i24_e32 v43, 12, v48
	s_delay_alu instid0(VALU_DEP_1)
	v_add_co_u32 v43, vcc_lo, s6, v43
	s_wait_loadcnt 0x1
	v_lshrrev_b32_e32 v172, 16, v41
	v_lshrrev_b32_e32 v198, 16, v40
	;; [unrolled: 1-line block ×3, first 2 shown]
	s_wait_loadcnt 0x0
	v_lshrrev_b32_e32 v189, 16, v34
	v_lshrrev_b32_e32 v187, 16, v35
	v_mul_f16_e64 v50, v49, v172
	v_mul_f16_e64 v54, v44, v172
	v_lshrrev_b32_e32 v190, 16, v36
	s_delay_alu instid0(VALU_DEP_3) | instskip(NEXT) | instid1(VALU_DEP_3)
	v_fma_f16 v52, v44, v41, -v50
	v_fmac_f16_e32 v54, v49, v41
	ds_load_2addr_b32 v[49:50], v104 offset1:160
	v_mul_hi_i32_i24_e32 v44, 12, v48
	s_wait_alu 0xfffd
	s_delay_alu instid0(VALU_DEP_1)
	v_add_co_ci_u32_e32 v44, vcc_lo, s7, v44, vcc_lo
	v_cmp_lt_u16_e32 vcc_lo, 0x4f, v47
	s_wait_alu 0xfffd
	v_cndmask_b32_e64 v47, 0, 0x640, vcc_lo
	s_wait_dscnt 0x0
	v_sub_f16_e32 v45, v49, v51
	v_sub_f16_e32 v125, v50, v52
	v_lshrrev_b32_e32 v140, 16, v49
	v_lshrrev_b32_e32 v146, 16, v50
	s_delay_alu instid0(VALU_DEP_4) | instskip(NEXT) | instid1(VALU_DEP_4)
	v_fma_f16 v144, v49, 2.0, -v45
	v_fma_f16 v149, v50, 2.0, -v125
	ds_load_2addr_b32 v[49:50], v105 offset1:160
	v_sub_f16_e64 v53, v140, v53
	v_sub_f16_e64 v54, v146, v54
	s_delay_alu instid0(VALU_DEP_2) | instskip(NEXT) | instid1(VALU_DEP_2)
	v_fma_f16 v140, v140, 2.0, -v53
	v_fma_f16 v146, v146, 2.0, -v54
	s_wait_dscnt 0x0
	v_lshrrev_b32_e32 v51, 16, v50
	v_mul_f16_e64 v145, v50, v154
	s_delay_alu instid0(VALU_DEP_2) | instskip(NEXT) | instid1(VALU_DEP_2)
	v_mul_f16_e64 v150, v51, v154
	v_fmac_f16_e64 v145, v51, v22
	ds_load_2addr_b32 v[51:52], v91 offset0:64 offset1:224
	v_fma_f16 v50, v50, v22, -v150
	s_wait_dscnt 0x0
	v_lshrrev_b32_e32 v153, 16, v52
	v_mul_f16_e64 v160, v52, v155
	v_lshrrev_b32_e32 v184, 16, v51
	s_delay_alu instid0(VALU_DEP_2) | instskip(SKIP_1) | instid1(VALU_DEP_3)
	v_fmac_f16_e64 v160, v153, v24
	v_mul_f16_e64 v153, v153, v155
	v_mul_f16_e64 v185, v184, v187
	s_delay_alu instid0(VALU_DEP_3) | instskip(NEXT) | instid1(VALU_DEP_3)
	v_sub_f16_e64 v150, v145, v160
	v_fma_f16 v52, v52, v24, -v153
	s_delay_alu instid0(VALU_DEP_3) | instskip(SKIP_1) | instid1(VALU_DEP_4)
	v_fma_f16 v185, v51, v35, -v185
	v_mul_f16_e64 v51, v51, v187
	v_fma_f16 v145, v145, 2.0, -v150
	s_delay_alu instid0(VALU_DEP_4) | instskip(SKIP_1) | instid1(VALU_DEP_4)
	v_sub_f16_e32 v52, v50, v52
	v_sub_f16_e64 v150, v45, v150
	v_fmac_f16_e64 v51, v184, v35
	s_delay_alu instid0(VALU_DEP_3) | instskip(SKIP_1) | instid1(VALU_DEP_4)
	v_fma_f16 v50, v50, 2.0, -v52
	v_add_f16_e32 v52, v53, v52
	v_fma_f16 v45, v45, 2.0, -v150
	s_delay_alu instid0(VALU_DEP_2) | instskip(SKIP_1) | instid1(VALU_DEP_2)
	v_fma_f16 v53, v53, 2.0, -v52
	v_pack_b32_f16 v153, v150, v52
	v_pack_b32_f16 v160, v45, v53
	v_sub_f16_e64 v45, v144, v50
	v_sub_f16_e64 v50, v140, v145
	s_delay_alu instid0(VALU_DEP_2) | instskip(NEXT) | instid1(VALU_DEP_2)
	v_fma_f16 v52, v144, 2.0, -v45
	v_fma_f16 v53, v140, 2.0, -v50
	ds_load_2addr_b32 v[144:145], v86 offset1:160
	v_pack_b32_f16 v50, v45, v50
	v_pack_b32_f16 v140, v52, v53
	ds_load_2addr_b32 v[52:53], v106 offset0:64 offset1:224
	s_wait_dscnt 0x1
	v_lshrrev_b32_e32 v162, 16, v144
	v_mul_f16_e64 v163, v144, v194
	s_wait_dscnt 0x0
	v_lshrrev_b32_e32 v45, 16, v52
	v_mul_f16_e64 v150, v52, v198
	s_delay_alu instid0(VALU_DEP_3) | instskip(SKIP_1) | instid1(VALU_DEP_3)
	v_fmac_f16_e64 v163, v162, v42
	v_mul_f16_e64 v162, v162, v194
	v_fmac_f16_e64 v150, v45, v40
	v_mul_f16_e64 v45, v45, v198
	s_delay_alu instid0(VALU_DEP_1) | instskip(NEXT) | instid1(VALU_DEP_4)
	v_fma_f16 v45, v52, v40, -v45
	v_fma_f16 v52, v144, v42, -v162
	s_delay_alu instid0(VALU_DEP_4) | instskip(NEXT) | instid1(VALU_DEP_2)
	v_sub_f16_e64 v144, v150, v163
	v_sub_f16_e32 v52, v45, v52
	s_delay_alu instid0(VALU_DEP_2) | instskip(SKIP_1) | instid1(VALU_DEP_3)
	v_fma_f16 v150, v150, 2.0, -v144
	v_sub_f16_e64 v144, v125, v144
	v_fma_f16 v45, v45, 2.0, -v52
	s_delay_alu instid0(VALU_DEP_3) | instskip(SKIP_1) | instid1(VALU_DEP_4)
	v_sub_f16_e64 v177, v146, v150
	v_add_f16_e32 v52, v54, v52
	v_fma_f16 v125, v125, 2.0, -v144
	s_delay_alu instid0(VALU_DEP_4) | instskip(NEXT) | instid1(VALU_DEP_4)
	v_sub_f16_e64 v164, v149, v45
	v_fma_f16 v146, v146, 2.0, -v177
	s_delay_alu instid0(VALU_DEP_4) | instskip(SKIP_1) | instid1(VALU_DEP_4)
	v_fma_f16 v54, v54, 2.0, -v52
	v_pack_b32_f16 v52, v144, v52
	v_fma_f16 v45, v149, 2.0, -v164
	s_delay_alu instid0(VALU_DEP_3) | instskip(SKIP_1) | instid1(VALU_DEP_3)
	v_pack_b32_f16 v54, v125, v54
	v_pack_b32_f16 v125, v164, v177
	;; [unrolled: 1-line block ×3, first 2 shown]
	global_load_b96 v[43:45], v[43:44], off offset:1560
	ds_load_2addr_b32 v[149:150], v87 offset1:160
	ds_load_2addr_b32 v[162:163], v103 offset1:160
	ds_load_2addr_b32 v[173:174], v107 offset0:64 offset1:224
	ds_load_2addr_b32 v[175:176], v88 offset0:64 offset1:224
	global_wb scope:SCOPE_SE
	s_wait_loadcnt_dscnt 0x0
	s_barrier_signal -1
	s_barrier_wait -1
	global_inv scope:SCOPE_SE
	ds_store_b32 v104, v160 offset:1600
	ds_store_b32 v104, v153 offset:4800
	;; [unrolled: 1-line block ×3, first 2 shown]
	ds_store_2addr_b32 v104, v140, v146 offset1:160
	v_add_lshl_u32 v153, v48, v47, 2
	v_lshrrev_b32_e32 v47, 16, v53
	v_lshrrev_b32_e32 v146, 16, v149
	;; [unrolled: 1-line block ×7, first 2 shown]
	v_mul_f16_e64 v179, v178, v192
	v_mul_f16_e64 v181, v180, v193
	;; [unrolled: 1-line block ×5, first 2 shown]
	v_fma_f16 v179, v150, v38, -v179
	v_mul_f16_e64 v150, v150, v192
	v_fma_f16 v181, v162, v37, -v181
	v_mul_f16_e64 v162, v162, v193
	;; [unrolled: 2-line block ×3, first 2 shown]
	v_fmac_f16_e64 v150, v178, v38
	v_fma_f16 v183, v163, v34, -v183
	v_fmac_f16_e64 v162, v180, v37
	v_mul_f16_e64 v163, v163, v189
	v_fmac_f16_e64 v175, v186, v39
	v_fma_f16 v200, v176, v36, -v200
	v_mul_f16_e64 v176, v176, v190
	v_sub_f16_e64 v178, v49, v185
	v_fmac_f16_e64 v163, v182, v34
	s_delay_alu instid0(VALU_DEP_3) | instskip(NEXT) | instid1(VALU_DEP_1)
	v_fmac_f16_e64 v176, v199, v36
	v_sub_f16_e64 v164, v163, v176
	s_delay_alu instid0(VALU_DEP_1) | instskip(SKIP_3) | instid1(VALU_DEP_3)
	v_fma_f16 v163, v163, 2.0, -v164
	v_lshrrev_b32_e32 v197, 16, v43
	v_lshrrev_b32_e32 v196, 16, v45
	;; [unrolled: 1-line block ×3, first 2 shown]
	v_mul_f16_e64 v48, v47, v197
	v_mul_f16_e64 v50, v53, v197
	s_delay_alu instid0(VALU_DEP_3) | instskip(NEXT) | instid1(VALU_DEP_3)
	v_mul_f16_e64 v160, v146, v195
	v_fma_f16 v48, v53, v43, -v48
	v_lshrrev_b32_e32 v53, 16, v145
	s_delay_alu instid0(VALU_DEP_3) | instskip(SKIP_2) | instid1(VALU_DEP_4)
	v_fma_f16 v160, v149, v44, -v160
	v_mul_f16_e64 v149, v149, v195
	v_fmac_f16_e32 v50, v47, v43
	v_mul_f16_e64 v140, v53, v196
	s_delay_alu instid0(VALU_DEP_4) | instskip(NEXT) | instid1(VALU_DEP_4)
	v_sub_f16_e64 v47, v173, v160
	v_fmac_f16_e64 v149, v146, v44
	v_lshrrev_b32_e32 v146, 16, v173
	v_lshrrev_b32_e32 v160, 16, v174
	v_fma_f16 v140, v145, v45, -v140
	v_mul_f16_e64 v145, v145, v196
	v_fma_f16 v173, v173, 2.0, -v47
	s_delay_alu instid0(VALU_DEP_3) | instskip(NEXT) | instid1(VALU_DEP_3)
	v_sub_f16_e64 v140, v48, v140
	v_fmac_f16_e64 v145, v53, v45
	v_sub_f16_e64 v53, v174, v179
	v_lshrrev_b32_e32 v179, 16, v49
	v_fma_f16 v49, v49, 2.0, -v178
	v_fma_f16 v48, v48, 2.0, -v140
	v_sub_f16_e64 v144, v50, v145
	v_sub_f16_e64 v145, v146, v149
	v_fma_f16 v174, v174, 2.0, -v53
	v_sub_f16_e64 v51, v179, v51
	v_sub_f16_e64 v48, v173, v48
	v_fma_f16 v50, v50, 2.0, -v144
	v_sub_f16_e64 v144, v47, v144
	v_add_f16_e64 v140, v145, v140
	v_fma_f16 v146, v146, 2.0, -v145
	s_delay_alu instid0(VALU_DEP_3) | instskip(NEXT) | instid1(VALU_DEP_3)
	v_fma_f16 v47, v47, 2.0, -v144
	v_fma_f16 v145, v145, 2.0, -v140
	s_delay_alu instid0(VALU_DEP_3)
	v_sub_f16_e64 v50, v146, v50
	v_pack_b32_f16 v140, v144, v140
	v_fma_f16 v144, v173, 2.0, -v48
	v_fma_f16 v173, v179, 2.0, -v51
	v_pack_b32_f16 v47, v47, v145
	v_fma_f16 v145, v146, 2.0, -v50
	v_pack_b32_f16 v48, v48, v50
	v_sub_f16_e64 v146, v162, v175
	v_sub_f16_e64 v175, v173, v163
	s_delay_alu instid0(VALU_DEP_4) | instskip(SKIP_2) | instid1(VALU_DEP_4)
	v_pack_b32_f16 v50, v144, v145
	v_sub_f16_e64 v144, v160, v150
	v_sub_f16_e64 v145, v181, v188
	v_fma_f16 v163, v173, 2.0, -v175
	ds_store_b32 v104, v54 offset:2240
	ds_store_b32 v104, v125 offset:3840
	;; [unrolled: 1-line block ×3, first 2 shown]
	ds_store_b32 v153, v50
	ds_store_b32 v153, v47 offset:1600
	ds_store_b32 v153, v48 offset:3200
	;; [unrolled: 1-line block ×3, first 2 shown]
	v_sub_f16_e64 v47, v53, v146
	v_fma_f16 v149, v160, 2.0, -v144
	v_fma_f16 v150, v181, 2.0, -v145
	;; [unrolled: 1-line block ×3, first 2 shown]
	v_add_f16_e64 v48, v144, v145
	v_add_nc_u32_e32 v125, 0x2000, v104
	s_delay_alu instid0(VALU_DEP_4) | instskip(NEXT) | instid1(VALU_DEP_4)
	v_sub_f16_e64 v150, v174, v150
	v_sub_f16_e64 v160, v149, v160
	s_delay_alu instid0(VALU_DEP_4) | instskip(NEXT) | instid1(VALU_DEP_3)
	v_fma_f16 v50, v144, 2.0, -v48
	v_fma_f16 v162, v174, 2.0, -v150
	s_delay_alu instid0(VALU_DEP_3) | instskip(NEXT) | instid1(VALU_DEP_1)
	v_fma_f16 v149, v149, 2.0, -v160
	v_pack_b32_f16 v149, v162, v149
	v_sub_f16_e64 v162, v183, v200
	s_delay_alu instid0(VALU_DEP_1) | instskip(SKIP_1) | instid1(VALU_DEP_2)
	v_fma_f16 v174, v183, 2.0, -v162
	v_add_f16_e64 v52, v51, v162
	v_sub_f16_e64 v174, v49, v174
	s_delay_alu instid0(VALU_DEP_2) | instskip(NEXT) | instid1(VALU_DEP_2)
	v_fma_f16 v51, v51, 2.0, -v52
	v_fma_f16 v49, v49, 2.0, -v174
	s_delay_alu instid0(VALU_DEP_1) | instskip(SKIP_4) | instid1(VALU_DEP_2)
	v_pack_b32_f16 v49, v49, v163
	v_add_nc_u32_e32 v163, 0x1a00, v104
	ds_store_2addr_b32 v163, v149, v49 offset0:16 offset1:176
	v_fma_f16 v49, v53, 2.0, -v47
	v_pack_b32_f16 v47, v47, v48
	v_pack_b32_f16 v49, v49, v50
	v_sub_f16_e64 v50, v178, v164
	v_add_nc_u32_e32 v164, 0x2600, v104
	s_delay_alu instid0(VALU_DEP_2) | instskip(SKIP_1) | instid1(VALU_DEP_2)
	v_fma_f16 v53, v178, 2.0, -v50
	v_pack_b32_f16 v48, v50, v52
	v_pack_b32_f16 v51, v53, v51
	ds_store_2addr_b32 v88, v47, v48 offset0:64 offset1:224
	ds_store_2addr_b32 v125, v49, v51 offset0:32 offset1:192
	v_pack_b32_f16 v49, v150, v160
	v_pack_b32_f16 v51, v174, v175
	ds_store_2addr_b32 v164, v49, v51 offset0:48 offset1:208
	global_wb scope:SCOPE_SE
	s_wait_dscnt 0x0
	s_barrier_signal -1
	s_barrier_wait -1
	global_inv scope:SCOPE_SE
	s_clause 0x7
	global_load_b32 v162, v104, s[6:7] offset:6360
	global_load_b32 v160, v104, s[6:7] offset:7000
	;; [unrolled: 1-line block ×8, first 2 shown]
	ds_load_2addr_b32 v[47:48], v92 offset0:64 offset1:224
	s_wait_dscnt 0x0
	v_lshrrev_b32_e32 v49, 16, v47
	v_lshrrev_b32_e32 v51, 16, v48
	s_wait_loadcnt 0x7
	v_lshrrev_b32_e32 v186, 16, v162
	s_wait_loadcnt 0x6
	v_lshrrev_b32_e32 v188, 16, v160
	s_delay_alu instid0(VALU_DEP_2) | instskip(NEXT) | instid1(VALU_DEP_2)
	v_mul_f16_e64 v50, v49, v186
	v_mul_f16_e64 v52, v51, v188
	;; [unrolled: 1-line block ×4, first 2 shown]
	s_wait_loadcnt 0x2
	v_lshrrev_b32_e32 v184, 16, v144
	v_fma_f16 v50, v47, v162, -v50
	v_fma_f16 v52, v48, v160, -v52
	ds_load_2addr_b32 v[47:48], v104 offset1:160
	v_fmac_f16_e64 v53, v49, v162
	v_fmac_f16_e64 v54, v51, v160
	s_wait_loadcnt 0x1
	v_lshrrev_b32_e32 v185, 16, v145
	s_wait_dscnt 0x0
	v_lshrrev_b32_e32 v49, 16, v47
	v_sub_f16_e32 v50, v47, v50
	v_sub_f16_e64 v177, v48, v52
	s_delay_alu instid0(VALU_DEP_3) | instskip(NEXT) | instid1(VALU_DEP_3)
	v_sub_f16_e32 v51, v49, v53
	v_fma_f16 v47, v47, 2.0, -v50
	s_delay_alu instid0(VALU_DEP_2) | instskip(SKIP_3) | instid1(VALU_DEP_4)
	v_fma_f16 v49, v49, 2.0, -v51
	v_pack_b32_f16 v51, v50, v51
	v_lshrrev_b32_e32 v50, 16, v48
	v_fma_f16 v48, v48, 2.0, -v177
	v_pack_b32_f16 v178, v47, v49
	ds_store_b32 v104, v51 offset:6400
	v_sub_f16_e64 v179, v50, v54
	s_delay_alu instid0(VALU_DEP_1) | instskip(NEXT) | instid1(VALU_DEP_1)
	v_fma_f16 v47, v50, 2.0, -v179
	v_pack_b32_f16 v180, v48, v47
	ds_load_2addr_b32 v[47:48], v87 offset1:160
	ds_load_2addr_b32 v[49:50], v91 offset0:64 offset1:224
	ds_load_2addr_b32 v[51:52], v86 offset1:160
	ds_load_2addr_b32 v[53:54], v88 offset0:64 offset1:224
	ds_load_2addr_b32 v[173:174], v107 offset0:64 offset1:224
	ds_load_2addr_b32 v[175:176], v105 offset1:160
	ds_load_2addr_b32 v[199:200], v106 offset0:64 offset1:224
	ds_load_2addr_b32 v[201:202], v103 offset1:160
	ds_store_2addr_b32 v104, v178, v180 offset1:160
	v_pack_b32_f16 v178, v177, v179
	v_lshrrev_b32_e32 v177, 16, v150
	s_wait_dscnt 0x8
	v_lshrrev_b32_e32 v179, 16, v47
	s_delay_alu instid0(VALU_DEP_2) | instskip(SKIP_2) | instid1(VALU_DEP_2)
	v_mul_f16_e64 v180, v47, v177
	s_wait_dscnt 0x4
	v_lshrrev_b32_e32 v182, 16, v173
	v_fmac_f16_e64 v180, v179, v150
	v_mul_f16_e64 v179, v179, v177
	s_delay_alu instid0(VALU_DEP_2) | instskip(NEXT) | instid1(VALU_DEP_2)
	v_sub_f16_e64 v180, v182, v180
	v_fma_f16 v47, v47, v150, -v179
	v_add_nc_u32_e32 v179, 0x1b00, v104
	s_delay_alu instid0(VALU_DEP_2) | instskip(NEXT) | instid1(VALU_DEP_1)
	v_sub_f16_e64 v47, v173, v47
	v_pack_b32_f16 v181, v47, v180
	v_fma_f16 v47, v173, 2.0, -v47
	v_lshrrev_b32_e32 v173, 16, v174
	ds_store_2addr_b32 v179, v178, v181 offset0:32 offset1:192
	v_lshrrev_b32_e32 v178, 16, v48
	v_lshrrev_b32_e32 v181, 16, v149
	s_delay_alu instid0(VALU_DEP_1) | instskip(NEXT) | instid1(VALU_DEP_1)
	v_mul_f16_e64 v183, v178, v181
	v_fma_f16 v183, v48, v149, -v183
	v_mul_f16_e64 v48, v48, v181
	s_delay_alu instid0(VALU_DEP_1) | instskip(SKIP_1) | instid1(VALU_DEP_4)
	v_fmac_f16_e64 v48, v178, v149
	v_fma_f16 v178, v182, 2.0, -v180
	v_sub_f16_e64 v180, v174, v183
	v_lshrrev_b32_e32 v183, 16, v146
	s_wait_loadcnt 0x0
	v_lshrrev_b32_e32 v182, 16, v140
	v_sub_f16_e64 v48, v173, v48
	v_pack_b32_f16 v47, v47, v178
	v_fma_f16 v174, v174, 2.0, -v180
	s_delay_alu instid0(VALU_DEP_3) | instskip(NEXT) | instid1(VALU_DEP_1)
	v_fma_f16 v173, v173, 2.0, -v48
	v_pack_b32_f16 v173, v174, v173
	ds_store_2addr_b32 v107, v47, v173 offset0:64 offset1:224
	v_pack_b32_f16 v47, v180, v48
	v_lshrrev_b32_e32 v48, 16, v49
	v_mul_f16_e64 v173, v49, v183
	v_add_nc_u32_e32 v180, 0x2500, v104
	s_delay_alu instid0(VALU_DEP_2) | instskip(SKIP_1) | instid1(VALU_DEP_1)
	v_fmac_f16_e64 v173, v48, v146
	v_mul_f16_e64 v48, v48, v183
	v_fma_f16 v48, v49, v146, -v48
	s_wait_dscnt 0x5
	v_lshrrev_b32_e32 v49, 16, v175
	s_delay_alu instid0(VALU_DEP_2) | instskip(NEXT) | instid1(VALU_DEP_2)
	v_sub_f16_e64 v48, v175, v48
	v_sub_f16_e64 v173, v49, v173
	s_delay_alu instid0(VALU_DEP_1) | instskip(SKIP_3) | instid1(VALU_DEP_1)
	v_pack_b32_f16 v174, v48, v173
	v_fma_f16 v48, v175, 2.0, -v48
	ds_store_2addr_b32 v125, v47, v174 offset0:32 offset1:192
	v_lshrrev_b32_e32 v47, 16, v50
	v_mul_f16_e64 v174, v47, v184
	s_delay_alu instid0(VALU_DEP_1) | instskip(SKIP_1) | instid1(VALU_DEP_1)
	v_fma_f16 v174, v50, v144, -v174
	v_mul_f16_e64 v50, v50, v184
	v_fmac_f16_e64 v50, v47, v144
	v_fma_f16 v47, v49, 2.0, -v173
	v_lshrrev_b32_e32 v173, 16, v176
	v_sub_f16_e64 v49, v176, v174
	s_delay_alu instid0(VALU_DEP_3) | instskip(NEXT) | instid1(VALU_DEP_3)
	v_pack_b32_f16 v47, v48, v47
	v_sub_f16_e64 v48, v173, v50
	s_delay_alu instid0(VALU_DEP_3) | instskip(SKIP_1) | instid1(VALU_DEP_3)
	v_fma_f16 v174, v176, 2.0, -v49
	v_add_nc_u32_e32 v176, 0x2a00, v104
	v_fma_f16 v50, v173, 2.0, -v48
	s_delay_alu instid0(VALU_DEP_1)
	v_pack_b32_f16 v50, v174, v50
	ds_store_2addr_b32 v105, v47, v50 offset1:160
	v_pack_b32_f16 v47, v49, v48
	v_lshrrev_b32_e32 v48, 16, v51
	v_mul_f16_e64 v49, v51, v185
	s_wait_dscnt 0x6
	v_lshrrev_b32_e32 v50, 16, v199
	s_delay_alu instid0(VALU_DEP_2) | instskip(SKIP_1) | instid1(VALU_DEP_2)
	v_fmac_f16_e64 v49, v48, v145
	v_mul_f16_e64 v48, v48, v185
	v_sub_f16_e32 v49, v50, v49
	s_delay_alu instid0(VALU_DEP_2) | instskip(NEXT) | instid1(VALU_DEP_1)
	v_fma_f16 v48, v51, v145, -v48
	v_sub_f16_e64 v48, v199, v48
	s_delay_alu instid0(VALU_DEP_1) | instskip(SKIP_3) | instid1(VALU_DEP_1)
	v_pack_b32_f16 v51, v48, v49
	v_fma_f16 v48, v199, 2.0, -v48
	ds_store_2addr_b32 v180, v47, v51 offset0:32 offset1:192
	v_lshrrev_b32_e32 v47, 16, v52
	v_mul_f16_e64 v51, v47, v182
	s_delay_alu instid0(VALU_DEP_1) | instskip(SKIP_1) | instid1(VALU_DEP_1)
	v_fma_f16 v51, v52, v140, -v51
	v_mul_f16_e64 v52, v52, v182
	v_fmac_f16_e64 v52, v47, v140
	v_fma_f16 v47, v50, 2.0, -v49
	v_lshrrev_b32_e32 v50, 16, v200
	v_sub_f16_e64 v49, v200, v51
	s_delay_alu instid0(VALU_DEP_3) | instskip(NEXT) | instid1(VALU_DEP_3)
	v_pack_b32_f16 v47, v48, v47
	v_sub_f16_e32 v48, v50, v52
	s_delay_alu instid0(VALU_DEP_3) | instskip(NEXT) | instid1(VALU_DEP_2)
	v_fma_f16 v51, v200, 2.0, -v49
	v_fma_f16 v50, v50, 2.0, -v48
	s_delay_alu instid0(VALU_DEP_1)
	v_pack_b32_f16 v50, v51, v50
	ds_store_2addr_b32 v106, v47, v50 offset0:64 offset1:224
	s_clause 0x1
	global_load_b32 v174, v104, s[6:7] offset:11480
	global_load_b32 v173, v104, s[6:7] offset:12120
	v_pack_b32_f16 v47, v49, v48
	v_lshrrev_b32_e32 v48, 16, v53
	s_wait_dscnt 0x7
	v_lshrrev_b32_e32 v50, 16, v201
	s_wait_loadcnt 0x1
	v_lshrrev_b32_e32 v175, 16, v174
	s_wait_loadcnt 0x0
	v_lshrrev_b32_e32 v178, 16, v173
	s_delay_alu instid0(VALU_DEP_2) | instskip(NEXT) | instid1(VALU_DEP_2)
	v_mul_f16_e64 v49, v53, v175
	v_mul_f16_e64 v52, v54, v178
	s_delay_alu instid0(VALU_DEP_2) | instskip(SKIP_1) | instid1(VALU_DEP_2)
	v_fmac_f16_e64 v49, v48, v174
	v_mul_f16_e64 v48, v48, v175
	v_sub_f16_e32 v49, v50, v49
	s_delay_alu instid0(VALU_DEP_2) | instskip(NEXT) | instid1(VALU_DEP_1)
	v_fma_f16 v48, v53, v174, -v48
	v_sub_f16_e64 v48, v201, v48
	s_delay_alu instid0(VALU_DEP_1) | instskip(SKIP_3) | instid1(VALU_DEP_1)
	v_pack_b32_f16 v51, v48, v49
	v_fma_f16 v48, v201, 2.0, -v48
	ds_store_2addr_b32 v176, v47, v51 offset0:32 offset1:192
	v_lshrrev_b32_e32 v47, 16, v54
	v_mul_f16_e64 v51, v47, v178
	v_fmac_f16_e64 v52, v47, v173
	v_fma_f16 v47, v50, 2.0, -v49
	v_lshrrev_b32_e32 v50, 16, v202
	s_delay_alu instid0(VALU_DEP_4) | instskip(NEXT) | instid1(VALU_DEP_3)
	v_fma_f16 v51, v54, v173, -v51
	v_pack_b32_f16 v47, v48, v47
	s_delay_alu instid0(VALU_DEP_3) | instskip(NEXT) | instid1(VALU_DEP_3)
	v_sub_f16_e32 v48, v50, v52
	v_sub_f16_e64 v49, v202, v51
	s_delay_alu instid0(VALU_DEP_2) | instskip(NEXT) | instid1(VALU_DEP_2)
	v_fma_f16 v50, v50, 2.0, -v48
	v_fma_f16 v51, v202, 2.0, -v49
	s_delay_alu instid0(VALU_DEP_1)
	v_pack_b32_f16 v50, v51, v50
	ds_store_2addr_b32 v103, v47, v50 offset1:160
	v_pack_b32_f16 v47, v49, v48
	ds_store_b32 v104, v47 offset:12160
	global_wb scope:SCOPE_SE
	s_wait_dscnt 0x0
	s_barrier_signal -1
	s_barrier_wait -1
	global_inv scope:SCOPE_SE
	s_clause 0x1
	global_load_b32 v49, v104, s[4:5] offset:12800
	global_load_b32 v50, v104, s[2:3] offset:12160
	ds_load_2addr_b32 v[47:48], v104 offset1:160
	s_wait_dscnt 0x0
	v_lshrrev_b32_e32 v52, 16, v47
	v_lshrrev_b32_e32 v203, 16, v48
	s_wait_loadcnt 0x1
	v_lshrrev_b32_e32 v51, 16, v49
	s_delay_alu instid0(VALU_DEP_1) | instskip(SKIP_1) | instid1(VALU_DEP_2)
	v_mul_f16_e32 v53, v47, v51
	v_mul_f16_e32 v51, v52, v51
	v_fmac_f16_e32 v53, v52, v49
	s_delay_alu instid0(VALU_DEP_2)
	v_fma_f16 v47, v47, v49, -v51
	s_clause 0x7
	global_load_b32 v49, v104, s[2:3] offset:640
	global_load_b32 v51, v104, s[2:3] offset:1280
	global_load_b32 v52, v104, s[2:3] offset:1920
	global_load_b32 v54, v104, s[2:3] offset:2560
	global_load_b32 v199, v104, s[2:3] offset:3200
	global_load_b32 v200, v104, s[2:3] offset:3840
	global_load_b32 v201, v104, s[2:3] offset:4480
	global_load_b32 v202, v104, s[2:3] offset:5120
	v_pack_b32_f16 v47, v47, v53
	ds_store_b32 v104, v47
	s_wait_loadcnt 0x7
	v_lshrrev_b32_e32 v204, 16, v49
	s_delay_alu instid0(VALU_DEP_1) | instskip(SKIP_1) | instid1(VALU_DEP_2)
	v_mul_f16_e64 v205, v203, v204
	v_mul_f16_e64 v204, v48, v204
	v_fma_f16 v205, v48, v49, -v205
	ds_load_2addr_b32 v[47:48], v107 offset0:64 offset1:224
	v_fmac_f16_e64 v204, v203, v49
	s_wait_loadcnt 0x6
	v_lshrrev_b32_e32 v49, 16, v51
	s_wait_dscnt 0x0
	v_lshrrev_b32_e32 v53, 16, v47
	s_delay_alu instid0(VALU_DEP_2) | instskip(NEXT) | instid1(VALU_DEP_2)
	v_mul_f16_e64 v203, v47, v49
	v_mul_f16_e32 v49, v53, v49
	s_delay_alu instid0(VALU_DEP_2) | instskip(NEXT) | instid1(VALU_DEP_2)
	v_fmac_f16_e64 v203, v53, v51
	v_fma_f16 v47, v47, v51, -v49
	v_pack_b32_f16 v49, v205, v204
	v_add_nc_u32_e32 v51, 0x200, v104
	s_delay_alu instid0(VALU_DEP_3) | instskip(SKIP_4) | instid1(VALU_DEP_2)
	v_pack_b32_f16 v47, v47, v203
	ds_store_2addr_b32 v51, v49, v47 offset0:32 offset1:192
	s_wait_loadcnt 0x5
	v_lshrrev_b32_e32 v47, 16, v52
	v_lshrrev_b32_e32 v49, 16, v48
	v_mul_f16_e32 v53, v48, v47
	s_delay_alu instid0(VALU_DEP_2) | instskip(NEXT) | instid1(VALU_DEP_2)
	v_mul_f16_e32 v51, v49, v47
	v_fmac_f16_e32 v53, v49, v52
	s_delay_alu instid0(VALU_DEP_2)
	v_fma_f16 v51, v48, v52, -v51
	ds_load_2addr_b32 v[47:48], v105 offset1:160
	s_wait_loadcnt 0x4
	v_lshrrev_b32_e32 v49, 16, v54
	s_wait_dscnt 0x0
	v_lshrrev_b32_e32 v52, 16, v47
	s_delay_alu instid0(VALU_DEP_2) | instskip(NEXT) | instid1(VALU_DEP_2)
	v_mul_f16_e64 v203, v47, v49
	v_mul_f16_e32 v49, v52, v49
	s_delay_alu instid0(VALU_DEP_2) | instskip(NEXT) | instid1(VALU_DEP_2)
	v_fmac_f16_e64 v203, v52, v54
	v_fma_f16 v47, v47, v54, -v49
	v_pack_b32_f16 v49, v51, v53
	v_add_nc_u32_e32 v51, 0x700, v104
	s_delay_alu instid0(VALU_DEP_3) | instskip(SKIP_4) | instid1(VALU_DEP_2)
	v_pack_b32_f16 v47, v47, v203
	ds_store_2addr_b32 v51, v49, v47 offset0:32 offset1:192
	s_wait_loadcnt 0x3
	v_lshrrev_b32_e32 v47, 16, v199
	v_lshrrev_b32_e32 v49, 16, v48
	v_mul_f16_e32 v52, v48, v47
	s_delay_alu instid0(VALU_DEP_2) | instskip(NEXT) | instid1(VALU_DEP_2)
	v_mul_f16_e32 v51, v49, v47
	v_fmac_f16_e64 v52, v49, v199
	s_delay_alu instid0(VALU_DEP_2)
	v_fma_f16 v51, v48, v199, -v51
	ds_load_2addr_b32 v[47:48], v106 offset0:64 offset1:224
	s_wait_loadcnt 0x2
	v_lshrrev_b32_e32 v49, 16, v200
	s_wait_dscnt 0x0
	v_lshrrev_b32_e32 v53, 16, v47
	s_delay_alu instid0(VALU_DEP_2) | instskip(NEXT) | instid1(VALU_DEP_2)
	v_mul_f16_e32 v54, v47, v49
	v_mul_f16_e32 v49, v53, v49
	s_delay_alu instid0(VALU_DEP_2) | instskip(NEXT) | instid1(VALU_DEP_2)
	v_fmac_f16_e64 v54, v53, v200
	v_fma_f16 v47, v47, v200, -v49
	v_pack_b32_f16 v49, v51, v52
	v_add_nc_u32_e32 v51, 0xc00, v104
	s_delay_alu instid0(VALU_DEP_3) | instskip(SKIP_4) | instid1(VALU_DEP_2)
	v_pack_b32_f16 v47, v47, v54
	ds_store_2addr_b32 v51, v49, v47 offset0:32 offset1:192
	s_wait_loadcnt 0x1
	v_lshrrev_b32_e32 v47, 16, v201
	v_lshrrev_b32_e32 v49, 16, v48
	v_mul_f16_e32 v52, v48, v47
	s_delay_alu instid0(VALU_DEP_2) | instskip(NEXT) | instid1(VALU_DEP_2)
	v_mul_f16_e32 v51, v49, v47
	v_fmac_f16_e64 v52, v49, v201
	s_delay_alu instid0(VALU_DEP_2)
	v_fma_f16 v51, v48, v201, -v51
	ds_load_2addr_b32 v[47:48], v103 offset1:160
	s_wait_loadcnt 0x0
	v_lshrrev_b32_e32 v49, 16, v202
	s_wait_dscnt 0x0
	v_lshrrev_b32_e32 v53, 16, v47
	s_delay_alu instid0(VALU_DEP_2) | instskip(NEXT) | instid1(VALU_DEP_2)
	v_mul_f16_e32 v54, v47, v49
	v_mul_f16_e32 v49, v53, v49
	s_delay_alu instid0(VALU_DEP_2) | instskip(NEXT) | instid1(VALU_DEP_2)
	v_fmac_f16_e64 v54, v53, v202
	v_fma_f16 v47, v47, v202, -v49
	v_pack_b32_f16 v49, v51, v52
	v_add_nc_u32_e32 v51, 0x1100, v104
	v_lshrrev_b32_e32 v202, 16, v48
	s_delay_alu instid0(VALU_DEP_4)
	v_pack_b32_f16 v47, v47, v54
	ds_store_2addr_b32 v51, v49, v47 offset0:32 offset1:192
	s_clause 0x7
	global_load_b32 v47, v104, s[2:3] offset:5760
	global_load_b32 v49, v104, s[2:3] offset:6400
	;; [unrolled: 1-line block ×8, first 2 shown]
	s_wait_loadcnt 0x7
	v_lshrrev_b32_e32 v201, 16, v47
	s_delay_alu instid0(VALU_DEP_1) | instskip(SKIP_1) | instid1(VALU_DEP_2)
	v_mul_f16_e64 v203, v202, v201
	v_mul_f16_e64 v201, v48, v201
	v_fma_f16 v203, v48, v47, -v203
	s_delay_alu instid0(VALU_DEP_2)
	v_fmac_f16_e64 v201, v202, v47
	ds_load_2addr_b32 v[47:48], v92 offset0:64 offset1:224
	s_wait_loadcnt 0x6
	v_lshrrev_b32_e32 v202, 16, v49
	s_wait_dscnt 0x0
	v_lshrrev_b32_e32 v204, 16, v47
	s_delay_alu instid0(VALU_DEP_2) | instskip(NEXT) | instid1(VALU_DEP_2)
	v_mul_f16_e64 v205, v47, v202
	v_mul_f16_e64 v202, v204, v202
	s_delay_alu instid0(VALU_DEP_2) | instskip(NEXT) | instid1(VALU_DEP_2)
	v_fmac_f16_e64 v205, v204, v49
	v_fma_f16 v47, v47, v49, -v202
	v_pack_b32_f16 v49, v203, v201
	v_add_nc_u32_e32 v201, 0x1600, v104
	s_delay_alu instid0(VALU_DEP_3) | instskip(SKIP_4) | instid1(VALU_DEP_2)
	v_pack_b32_f16 v47, v47, v205
	ds_store_2addr_b32 v201, v49, v47 offset0:32 offset1:192
	s_wait_loadcnt 0x5
	v_lshrrev_b32_e32 v47, 16, v51
	v_lshrrev_b32_e32 v49, 16, v48
	v_mul_f16_e64 v202, v48, v47
	s_delay_alu instid0(VALU_DEP_2) | instskip(NEXT) | instid1(VALU_DEP_2)
	v_mul_f16_e64 v201, v49, v47
	v_fmac_f16_e64 v202, v49, v51
	s_delay_alu instid0(VALU_DEP_2)
	v_fma_f16 v201, v48, v51, -v201
	ds_load_2addr_b32 v[47:48], v87 offset1:160
	s_wait_loadcnt 0x4
	v_lshrrev_b32_e32 v49, 16, v52
	s_wait_dscnt 0x0
	v_lshrrev_b32_e32 v51, 16, v47
	s_delay_alu instid0(VALU_DEP_2) | instskip(NEXT) | instid1(VALU_DEP_2)
	v_mul_f16_e64 v203, v47, v49
	v_mul_f16_e32 v49, v51, v49
	s_delay_alu instid0(VALU_DEP_2) | instskip(SKIP_1) | instid1(VALU_DEP_3)
	v_fmac_f16_e64 v203, v51, v52
	v_lshrrev_b32_e32 v51, 16, v48
	v_fma_f16 v49, v47, v52, -v49
	s_wait_loadcnt 0x3
	v_lshrrev_b32_e32 v47, 16, v53
	s_delay_alu instid0(VALU_DEP_2) | instskip(NEXT) | instid1(VALU_DEP_2)
	v_pack_b32_f16 v49, v49, v203
	v_mul_f16_e32 v52, v51, v47
	v_mul_f16_e64 v204, v48, v47
	s_delay_alu instid0(VALU_DEP_2)
	v_fma_f16 v52, v48, v53, -v52
	ds_load_2addr_b32 v[47:48], v91 offset0:64 offset1:224
	v_fmac_f16_e64 v204, v51, v53
	s_wait_loadcnt 0x2
	v_lshrrev_b32_e32 v51, 16, v54
	s_wait_dscnt 0x0
	v_lshrrev_b32_e32 v53, 16, v47
	s_delay_alu instid0(VALU_DEP_2) | instskip(NEXT) | instid1(VALU_DEP_2)
	v_mul_f16_e64 v205, v47, v51
	v_mul_f16_e32 v51, v53, v51
	s_delay_alu instid0(VALU_DEP_2) | instskip(SKIP_1) | instid1(VALU_DEP_3)
	v_fmac_f16_e64 v205, v53, v54
	v_lshrrev_b32_e32 v53, 16, v48
	v_fma_f16 v51, v47, v54, -v51
	s_wait_loadcnt 0x1
	v_lshrrev_b32_e32 v47, 16, v199
	s_delay_alu instid0(VALU_DEP_1) | instskip(SKIP_1) | instid1(VALU_DEP_2)
	v_mul_f16_e32 v54, v53, v47
	v_mul_f16_e64 v206, v48, v47
	v_fma_f16 v54, v48, v199, -v54
	ds_load_2addr_b32 v[47:48], v86 offset1:160
	v_fmac_f16_e64 v206, v53, v199
	s_wait_loadcnt 0x0
	v_lshrrev_b32_e32 v53, 16, v200
	s_wait_dscnt 0x0
	v_lshrrev_b32_e32 v199, 16, v47
	s_delay_alu instid0(VALU_DEP_2) | instskip(SKIP_1) | instid1(VALU_DEP_3)
	v_mul_f16_e64 v207, v47, v53
	v_lshrrev_b32_e32 v208, 16, v48
	v_mul_f16_e64 v53, v199, v53
	s_delay_alu instid0(VALU_DEP_3) | instskip(NEXT) | instid1(VALU_DEP_2)
	v_fmac_f16_e64 v207, v199, v200
	v_fma_f16 v53, v47, v200, -v53
	s_clause 0x1
	global_load_b32 v47, v104, s[2:3] offset:10880
	global_load_b32 v199, v104, s[2:3] offset:11520
	s_wait_loadcnt 0x1
	v_lshrrev_b32_e32 v200, 16, v47
	s_delay_alu instid0(VALU_DEP_1) | instskip(SKIP_1) | instid1(VALU_DEP_2)
	v_mul_f16_e64 v209, v208, v200
	v_mul_f16_e64 v200, v48, v200
	v_fma_f16 v209, v48, v47, -v209
	s_delay_alu instid0(VALU_DEP_2)
	v_fmac_f16_e64 v200, v208, v47
	ds_load_2addr_b32 v[47:48], v88 offset0:64 offset1:224
	s_wait_loadcnt 0x0
	v_lshrrev_b32_e32 v208, 16, v199
	s_wait_dscnt 0x0
	v_lshrrev_b32_e32 v210, 16, v47
	s_delay_alu instid0(VALU_DEP_2) | instskip(NEXT) | instid1(VALU_DEP_2)
	v_mul_f16_e64 v211, v47, v208
	v_mul_f16_e64 v208, v210, v208
	s_delay_alu instid0(VALU_DEP_2) | instskip(NEXT) | instid1(VALU_DEP_2)
	v_fmac_f16_e64 v211, v210, v199
	v_fma_f16 v47, v47, v199, -v208
	v_lshrrev_b32_e32 v199, 16, v50
	v_lshrrev_b32_e32 v208, 16, v48
	s_delay_alu instid0(VALU_DEP_3) | instskip(NEXT) | instid1(VALU_DEP_2)
	v_pack_b32_f16 v47, v47, v211
	v_mul_f16_e64 v210, v208, v199
	v_mul_f16_e64 v199, v48, v199
	s_delay_alu instid0(VALU_DEP_2) | instskip(NEXT) | instid1(VALU_DEP_2)
	v_fma_f16 v48, v48, v50, -v210
	v_fmac_f16_e64 v199, v208, v50
	v_pack_b32_f16 v50, v201, v202
	ds_store_2addr_b32 v179, v50, v49 offset0:32 offset1:192
	v_pack_b32_f16 v49, v51, v205
	v_pack_b32_f16 v50, v52, v204
	ds_store_2addr_b32 v125, v50, v49 offset0:32 offset1:192
	v_pack_b32_f16 v49, v53, v207
	v_pack_b32_f16 v50, v54, v206
	ds_store_2addr_b32 v180, v50, v49 offset0:32 offset1:192
	v_pack_b32_f16 v49, v209, v200
	ds_store_2addr_b32 v176, v49, v47 offset0:32 offset1:192
	v_pack_b32_f16 v47, v48, v199
	ds_store_b32 v104, v47 offset:12160
	global_wb scope:SCOPE_SE
	s_wait_dscnt 0x0
	s_barrier_signal -1
	s_barrier_wait -1
	global_inv scope:SCOPE_SE
	ds_load_2addr_b32 v[47:48], v87 offset1:160
	ds_load_2addr_b32 v[49:50], v86 offset1:160
	;; [unrolled: 1-line block ×4, first 2 shown]
	s_wait_dscnt 0x3
	v_lshrrev_b32_e32 v214, 16, v47
	s_wait_dscnt 0x2
	v_sub_f16_e64 v199, v47, v49
	s_wait_dscnt 0x0
	v_sub_f16_e64 v200, v51, v53
	v_lshrrev_b32_e32 v213, 16, v51
	v_lshrrev_b32_e32 v215, 16, v53
	;; [unrolled: 1-line block ×3, first 2 shown]
	v_sub_f16_e64 v234, v51, v47
	v_add_f16_e64 v211, v200, v199
	ds_load_2addr_b32 v[199:200], v91 offset0:64 offset1:224
	ds_load_2addr_b32 v[201:202], v88 offset0:64 offset1:224
	;; [unrolled: 1-line block ×4, first 2 shown]
	v_add_f16_e64 v209, v213, v214
	v_sub_f16_e64 v210, v214, v216
	v_sub_f16_e64 v228, v213, v214
	;; [unrolled: 1-line block ×6, first 2 shown]
	s_wait_dscnt 0x3
	v_lshrrev_b32_e32 v221, 16, v199
	s_wait_dscnt 0x2
	v_sub_f16_e64 v207, v199, v201
	s_wait_dscnt 0x0
	v_sub_f16_e64 v208, v205, v203
	v_lshrrev_b32_e32 v218, 16, v205
	v_lshrrev_b32_e32 v224, 16, v201
	;; [unrolled: 1-line block ×3, first 2 shown]
	v_sub_f16_e64 v237, v203, v201
	v_add_f16_e64 v212, v208, v207
	ds_load_2addr_b32 v[207:208], v104 offset1:160
	v_add_f16_e64 v223, v218, v221
	v_add_f16_e64 v226, v225, v224
	v_sub_f16_e64 v227, v221, v224
	v_sub_f16_e64 v231, v218, v221
	;; [unrolled: 1-line block ×3, first 2 shown]
	s_wait_dscnt 0x0
	v_lshrrev_b32_e32 v219, 16, v207
	s_delay_alu instid0(VALU_DEP_1) | instskip(SKIP_3) | instid1(VALU_DEP_3)
	v_fma_f16 v220, -0.5, v209, v219
	v_add_f16_e64 v209, v215, v216
	v_sub_f16_e64 v216, v224, v221
	v_sub_f16_e64 v221, v203, v205
	v_fmac_f16_e64 v219, -0.5, v209
	v_sub_f16_e64 v209, v213, v215
	v_sub_f16_e64 v213, v215, v213
	;; [unrolled: 1-line block ×3, first 2 shown]
	s_delay_alu instid0(VALU_DEP_4) | instskip(NEXT) | instid1(VALU_DEP_4)
	v_fma_f16 v235, 0xbb9c, v234, v219
	v_add_f16_e64 v217, v209, v210
	ds_load_2addr_b32 v[209:210], v107 offset0:64 offset1:224
	v_fmac_f16_e64 v219, 0x3b9c, v234
	v_add_f16_e64 v215, v215, v216
	v_fmac_f16_e64 v235, 0x38b4, v236
	global_wb scope:SCOPE_SE
	s_wait_dscnt 0x0
	s_barrier_signal -1
	v_fmac_f16_e64 v219, 0xb8b4, v236
	s_barrier_wait -1
	v_fmac_f16_e64 v235, 0x34f2, v217
	global_inv scope:SCOPE_SE
	v_fmac_f16_e64 v219, 0x34f2, v217
	v_sub_f16_e64 v217, v205, v199
	v_lshrrev_b32_e32 v222, 16, v209
	s_delay_alu instid0(VALU_DEP_1) | instskip(SKIP_3) | instid1(VALU_DEP_2)
	v_fma_f16 v223, -0.5, v223, v222
	v_fmac_f16_e64 v222, -0.5, v226
	v_sub_f16_e64 v226, v218, v225
	v_sub_f16_e64 v218, v201, v199
	v_add_f16_e64 v226, v226, v227
	v_add_f16_e64 v227, v53, v49
	s_delay_alu instid0(VALU_DEP_3)
	v_add_f16_e64 v218, v221, v218
	v_add_f16_e64 v221, v213, v214
	;; [unrolled: 1-line block ×3, first 2 shown]
	v_fma_f16 v214, 0x3b9c, v237, v223
	v_fma_f16 v227, -0.5, v227, v207
	v_fmac_f16_e64 v223, 0xbb9c, v237
	v_pk_add_f16 v53, v207, v53
	v_fma_f16 v216, -0.5, v213, v209
	v_fmac_f16_e64 v214, 0x38b4, v217
	v_fma_f16 v229, 0x3b9c, v228, v227
	v_fmac_f16_e64 v227, 0xbb9c, v228
	v_fmac_f16_e64 v223, 0xb8b4, v217
	v_fma_f16 v213, 0xbb9c, v233, v216
	v_fmac_f16_e64 v214, 0x34f2, v215
	v_fmac_f16_e64 v229, 0xb8b4, v230
	;; [unrolled: 1-line block ×5, first 2 shown]
	v_mul_f16_e64 v225, 0xb8b4, v214
	v_fmac_f16_e64 v229, 0x34f2, v211
	v_fmac_f16_e64 v227, 0x34f2, v211
	v_add_f16_e64 v211, v203, v201
	v_fmac_f16_e64 v213, 0x34f2, v218
	v_fmac_f16_e64 v216, 0x38b4, v231
	;; [unrolled: 1-line block ×3, first 2 shown]
	s_delay_alu instid0(VALU_DEP_4) | instskip(NEXT) | instid1(VALU_DEP_4)
	v_fma_f16 v211, -0.5, v211, v209
	v_mul_f16_e64 v224, 0x38b4, v213
	v_fmac_f16_e64 v225, 0x3a79, v213
	v_fmac_f16_e64 v216, 0x34f2, v218
	s_delay_alu instid0(VALU_DEP_4) | instskip(SKIP_2) | instid1(VALU_DEP_3)
	v_fma_f16 v232, 0x3b9c, v231, v211
	v_fmac_f16_e64 v211, 0xbb9c, v231
	v_fmac_f16_e64 v224, 0x3a79, v214
	;; [unrolled: 1-line block ×3, first 2 shown]
	s_delay_alu instid0(VALU_DEP_3) | instskip(NEXT) | instid1(VALU_DEP_2)
	v_fmac_f16_e64 v211, 0x38b4, v233
	v_fmac_f16_e64 v232, 0x34f2, v212
	s_delay_alu instid0(VALU_DEP_2) | instskip(SKIP_2) | instid1(VALU_DEP_2)
	v_fmac_f16_e64 v211, 0x34f2, v212
	v_fma_f16 v212, 0xbb9c, v217, v222
	v_fmac_f16_e64 v222, 0x3b9c, v217
	v_fmac_f16_e64 v212, 0x38b4, v237
	s_delay_alu instid0(VALU_DEP_2) | instskip(NEXT) | instid1(VALU_DEP_2)
	v_fmac_f16_e64 v222, 0xb8b4, v237
	v_fmac_f16_e64 v212, 0x34f2, v226
	s_delay_alu instid0(VALU_DEP_2) | instskip(NEXT) | instid1(VALU_DEP_2)
	v_fmac_f16_e64 v222, 0x34f2, v226
	v_mul_f16_e64 v238, 0xbb9c, v212
	s_delay_alu instid0(VALU_DEP_2) | instskip(SKIP_2) | instid1(VALU_DEP_4)
	v_mul_f16_e64 v226, 0xbb9c, v222
	v_mul_f16_e64 v222, 0xb4f2, v222
	;; [unrolled: 1-line block ×3, first 2 shown]
	v_fmac_f16_e64 v238, 0x34f2, v232
	s_delay_alu instid0(VALU_DEP_4) | instskip(NEXT) | instid1(VALU_DEP_4)
	v_fmac_f16_e64 v226, 0xb4f2, v211
	v_fmac_f16_e64 v222, 0x3b9c, v211
	s_delay_alu instid0(VALU_DEP_4) | instskip(NEXT) | instid1(VALU_DEP_4)
	v_fmac_f16_e64 v239, 0x3b9c, v232
	v_sub_f16_e64 v213, v229, v238
	s_delay_alu instid0(VALU_DEP_4) | instskip(NEXT) | instid1(VALU_DEP_4)
	v_add_f16_e64 v211, v227, v226
	v_add_f16_e64 v212, v219, v222
	s_delay_alu instid0(VALU_DEP_4)
	v_add_f16_e64 v232, v235, v239
	v_sub_f16_e64 v214, v235, v239
	v_fma_f16 v235, 0x3b9c, v236, v220
	v_fmac_f16_e64 v220, 0xbb9c, v236
	v_pack_b32_f16 v212, v211, v212
	v_add_f16_e64 v211, v229, v238
	v_add_f16_e64 v229, v51, v47
	v_pk_add_f16 v51, v53, v51
	v_pk_add_f16 v53, v209, v203
	v_fmac_f16_e64 v235, 0x38b4, v234
	v_pack_b32_f16 v211, v211, v232
	v_fma_f16 v229, -0.5, v229, v207
	v_sub_f16_e64 v232, v49, v47
	v_fmac_f16_e64 v220, 0xb8b4, v234
	v_pk_add_f16 v53, v53, v205
	v_fmac_f16_e64 v235, 0x34f2, v221
	v_fma_f16 v238, 0xbb9c, v230, v229
	v_add_f16_e64 v232, v240, v232
	v_fmac_f16_e64 v229, 0x3b9c, v230
	v_fmac_f16_e64 v220, 0x34f2, v221
	v_mul_f16_e64 v221, 0xb8b4, v223
	v_fmac_f16_e64 v238, 0xb8b4, v228
	v_mul_f16_e64 v223, 0xba79, v223
	v_fmac_f16_e64 v229, 0x38b4, v228
	v_pk_add_f16 v47, v51, v47
	v_pk_add_f16 v51, v53, v199
	v_fmac_f16_e64 v238, 0x34f2, v232
	v_add_f16_e64 v215, v235, v224
	v_fmac_f16_e64 v229, 0x34f2, v232
	v_fmac_f16_e64 v221, 0xba79, v216
	;; [unrolled: 1-line block ×3, first 2 shown]
	v_add_f16_e64 v216, v238, v225
	v_pk_add_f16 v47, v47, v49
	v_pk_add_f16 v49, v51, v201
	v_pack_b32_f16 v214, v213, v214
	v_sub_f16_e64 v213, v235, v224
	v_pack_b32_f16 v216, v216, v215
	v_sub_f16_e64 v239, v238, v225
	v_pk_add_f16 v215, v47, v49
	v_pk_add_f16 v218, v47, v49 neg_lo:[0,1] neg_hi:[0,1]
	v_add_f16_e64 v47, v229, v221
	v_add_f16_e64 v49, v220, v223
	v_sub_f16_e64 v53, v219, v222
	v_pack_b32_f16 v213, v239, v213
	v_sub_f16_e64 v51, v220, v223
	v_lshrrev_b32_e32 v201, 16, v50
	v_pack_b32_f16 v217, v47, v49
	v_sub_f16_e64 v47, v227, v226
	ds_store_2addr_b64 v112, v[215:216], v[211:212] offset1:1
	ds_store_2addr_b64 v112, v[217:218], v[213:214] offset0:2 offset1:3
	v_sub_f16_e64 v49, v229, v221
	v_pack_b32_f16 v211, v47, v53
	v_pk_add_f16 v47, v208, v54
	v_lshrrev_b32_e32 v53, 16, v54
	v_sub_f16_e64 v203, v50, v48
	v_pack_b32_f16 v212, v49, v51
	v_add_f16_e32 v49, v54, v50
	v_pk_add_f16 v47, v47, v52
	v_sub_f16_e32 v51, v54, v50
	v_lshrrev_b32_e32 v205, 16, v52
	ds_store_b64 v112, v[211:212] offset:32
	v_sub_f16_e32 v112, v54, v52
	v_pk_add_f16 v47, v47, v48
	v_sub_f16_e32 v54, v52, v54
	v_lshrrev_b32_e32 v207, 16, v48
	v_fma_f16 v211, -0.5, v49, v208
	v_lshrrev_b32_e32 v49, 16, v202
	v_pk_add_f16 v199, v47, v50
	v_sub_f16_e32 v47, v48, v50
	v_add_f16_e32 v50, v52, v48
	v_sub_f16_e32 v52, v52, v48
	v_pk_add_f16 v48, v210, v204
	v_sub_f16_e64 v213, v200, v202
	v_lshrrev_b32_e32 v214, 16, v204
	v_fma_f16 v209, -0.5, v50, v208
	v_sub_f16_e64 v50, v202, v200
	v_pk_add_f16 v48, v48, v206
	v_sub_f16_e64 v215, v204, v206
	v_lshrrev_b32_e32 v208, 16, v208
	v_add_f16_e32 v47, v54, v47
	v_add_f16_e64 v216, v206, v200
	v_pk_add_f16 v48, v48, v200
	v_lshrrev_b32_e32 v217, 16, v206
	v_sub_f16_e64 v218, v207, v201
	v_add_f16_e64 v219, v214, v49
	v_fma_f16 v216, -0.5, v216, v210
	v_pk_add_f16 v212, v48, v202
	v_add_f16_e64 v48, v204, v202
	v_sub_f16_e64 v202, v204, v202
	v_sub_f16_e64 v204, v206, v204
	;; [unrolled: 1-line block ×3, first 2 shown]
	v_lshrrev_b32_e32 v200, 16, v200
	v_fma_f16 v48, -0.5, v48, v210
	v_lshrrev_b32_e32 v210, 16, v210
	v_add_f16_e64 v54, v204, v213
	v_add_f16_e64 v204, v205, v207
	;; [unrolled: 1-line block ×3, first 2 shown]
	v_sub_f16_e64 v220, v200, v49
	v_sub_f16_e64 v222, v53, v201
	;; [unrolled: 1-line block ×3, first 2 shown]
	v_fma_f16 v204, -0.5, v204, v208
	v_fmac_f16_e64 v208, -0.5, v213
	v_sub_f16_e64 v213, v205, v53
	v_sub_f16_e64 v224, v214, v49
	;; [unrolled: 1-line block ×5, first 2 shown]
	v_add_f16_e64 v213, v213, v218
	v_add_f16_e64 v218, v217, v200
	;; [unrolled: 1-line block ×5, first 2 shown]
	s_delay_alu instid0(VALU_DEP_4) | instskip(SKIP_2) | instid1(VALU_DEP_3)
	v_fma_f16 v218, -0.5, v218, v210
	v_fmac_f16_e64 v210, -0.5, v219
	v_sub_f16_e64 v219, v217, v214
	v_fma_f16 v50, 0x3b9c, v202, v218
	v_fmac_f16_e64 v218, 0xbb9c, v202
	s_delay_alu instid0(VALU_DEP_3)
	v_add_f16_e64 v219, v219, v220
	v_sub_f16_e64 v220, v205, v207
	v_sub_f16_e64 v205, v214, v217
	v_fmac_f16_e64 v50, 0x38b4, v206
	v_fma_f16 v207, 0xbb9c, v222, v209
	v_fmac_f16_e64 v209, 0x3b9c, v222
	v_fma_f16 v221, 0x3b9c, v220, v211
	v_fmac_f16_e64 v211, 0xbb9c, v220
	v_add_f16_e64 v201, v205, v49
	v_fma_f16 v49, 0xbb9c, v224, v216
	v_fmac_f16_e64 v216, 0x3b9c, v224
	v_fmac_f16_e64 v221, 0xb8b4, v222
	;; [unrolled: 1-line block ×8, first 2 shown]
	v_fma_f16 v47, 0x3b9c, v223, v48
	v_fmac_f16_e64 v48, 0xbb9c, v223
	v_fmac_f16_e64 v49, 0x34f2, v200
	v_mul_f16_e64 v205, 0xb8b4, v50
	v_fmac_f16_e64 v207, 0xb8b4, v220
	v_fmac_f16_e64 v47, 0xb8b4, v224
	;; [unrolled: 1-line block ×3, first 2 shown]
	v_mul_f16_e64 v203, 0x38b4, v49
	v_fmac_f16_e64 v209, 0x38b4, v220
	v_fmac_f16_e64 v216, 0x38b4, v223
	v_fmac_f16_e32 v47, 0x34f2, v54
	v_fmac_f16_e32 v48, 0x34f2, v54
	v_fma_f16 v54, 0xbb9c, v52, v208
	v_fmac_f16_e64 v208, 0x3b9c, v52
	v_fmac_f16_e64 v203, 0x3a79, v50
	;; [unrolled: 1-line block ×4, first 2 shown]
	v_fmac_f16_e32 v54, 0x38b4, v51
	v_fmac_f16_e64 v208, 0xb8b4, v51
	v_fmac_f16_e64 v207, 0x34f2, v112
	;; [unrolled: 1-line block ×6, first 2 shown]
	v_fma_f16 v213, 0xbb9c, v206, v210
	v_fmac_f16_e64 v210, 0x3b9c, v206
	v_mul_f16_e64 v112, 0xb8b4, v218
	v_mul_f16_e64 v200, 0xba79, v218
	s_delay_alu instid0(VALU_DEP_4) | instskip(NEXT) | instid1(VALU_DEP_4)
	v_fmac_f16_e64 v213, 0x38b4, v202
	v_fmac_f16_e64 v210, 0xb8b4, v202
	s_delay_alu instid0(VALU_DEP_4) | instskip(NEXT) | instid1(VALU_DEP_4)
	v_fmac_f16_e64 v112, 0xba79, v216
	v_fmac_f16_e64 v200, 0x38b4, v216
	;; [unrolled: 3-line block ×3, first 2 shown]
	s_delay_alu instid0(VALU_DEP_2) | instskip(SKIP_1) | instid1(VALU_DEP_3)
	v_mul_f16_e64 v225, 0xbb9c, v213
	v_mul_f16_e64 v213, 0x34f2, v213
	;; [unrolled: 1-line block ×4, first 2 shown]
	s_delay_alu instid0(VALU_DEP_4) | instskip(NEXT) | instid1(VALU_DEP_4)
	v_fmac_f16_e64 v225, 0x34f2, v47
	v_fmac_f16_e64 v213, 0x3b9c, v47
	s_delay_alu instid0(VALU_DEP_4) | instskip(NEXT) | instid1(VALU_DEP_4)
	v_fmac_f16_e64 v219, 0xb4f2, v48
	v_fmac_f16_e64 v210, 0x3b9c, v48
	s_delay_alu instid0(VALU_DEP_4) | instskip(NEXT) | instid1(VALU_DEP_4)
	v_sub_f16_e64 v49, v221, v225
	v_add_f16_e64 v226, v54, v213
	v_sub_f16_e64 v50, v54, v213
	v_fma_f16 v54, 0x3b9c, v51, v204
	v_fmac_f16_e64 v204, 0xbb9c, v51
	v_add_f16_e64 v47, v211, v219
	v_add_f16_e64 v48, v208, v210
	v_pack_b32_f16 v50, v49, v50
	v_fmac_f16_e32 v54, 0x38b4, v52
	v_fmac_f16_e64 v204, 0xb8b4, v52
	v_add_f16_e64 v52, v207, v205
	v_pack_b32_f16 v48, v47, v48
	v_add_f16_e64 v47, v221, v225
	v_fmac_f16_e32 v54, 0x34f2, v53
	v_fmac_f16_e64 v204, 0x34f2, v53
	v_sub_f16_e64 v213, v207, v205
	v_add_f16_e64 v53, v209, v112
	v_pack_b32_f16 v47, v47, v226
	v_add_f16_e64 v51, v54, v203
	v_sub_f16_e64 v49, v54, v203
	v_pk_add_f16 v54, v199, v212 neg_lo:[0,1] neg_hi:[0,1]
	s_delay_alu instid0(VALU_DEP_3) | instskip(SKIP_3) | instid1(VALU_DEP_2)
	v_pack_b32_f16 v52, v52, v51
	v_pk_add_f16 v51, v199, v212
	v_add_f16_e64 v199, v204, v200
	v_pack_b32_f16 v49, v213, v49
	v_pack_b32_f16 v53, v53, v199
	ds_store_2addr_b64 v113, v[51:52], v[47:48] offset1:1
	ds_store_2addr_b64 v113, v[53:54], v[49:50] offset0:2 offset1:3
	v_sub_f16_e64 v47, v211, v219
	v_sub_f16_e64 v48, v209, v112
	;; [unrolled: 1-line block ×4, first 2 shown]
	s_delay_alu instid0(VALU_DEP_2) | instskip(NEXT) | instid1(VALU_DEP_2)
	v_pack_b32_f16 v48, v48, v49
	v_pack_b32_f16 v47, v47, v50
	ds_store_b64 v113, v[47:48] offset:32
	global_wb scope:SCOPE_SE
	s_wait_dscnt 0x0
	s_barrier_signal -1
	s_barrier_wait -1
	global_inv scope:SCOPE_SE
	ds_load_2addr_b32 v[47:48], v107 offset0:64 offset1:224
	ds_load_2addr_b32 v[199:200], v105 offset1:160
	ds_load_2addr_b32 v[201:202], v106 offset0:64 offset1:224
	ds_load_2addr_b32 v[203:204], v86 offset1:160
	s_wait_dscnt 0x3
	v_lshrrev_b32_e32 v49, 16, v47
	v_mul_f16_e64 v51, v128, v47
	s_wait_dscnt 0x2
	v_mul_f16_e64 v52, v142, v199
	s_wait_dscnt 0x1
	v_mul_f16_e64 v53, v143, v201
	v_mul_f16_e64 v50, v128, v49
	v_fma_f16 v51, v8, v49, -v51
	v_lshrrev_b32_e32 v49, 16, v199
	s_delay_alu instid0(VALU_DEP_3) | instskip(NEXT) | instid1(VALU_DEP_2)
	v_fmac_f16_e32 v50, v8, v47
	v_mul_f16_e64 v112, v142, v49
	v_fma_f16 v54, v9, v49, -v52
	v_lshrrev_b32_e32 v49, 16, v201
	s_delay_alu instid0(VALU_DEP_3) | instskip(SKIP_1) | instid1(VALU_DEP_3)
	v_fmac_f16_e64 v112, v9, v199
	v_lshrrev_b32_e32 v9, 16, v48
	v_mul_f16_e64 v52, v143, v49
	ds_load_2addr_b32 v[142:143], v103 offset1:160
	v_fma_f16 v53, v10, v49, -v53
	v_mul_f16_e32 v8, v126, v9
	v_fmac_f16_e64 v52, v10, v201
	v_mul_f16_e32 v10, v126, v48
	v_mul_f16_e64 v126, v129, v200
	v_add_f16_e64 v206, v51, v53
	v_fmac_f16_e32 v8, v12, v48
	v_add_f16_e64 v208, v50, v52
	v_fma_f16 v9, v12, v9, -v10
	s_wait_dscnt 0x0
	v_lshrrev_b32_e32 v49, 16, v142
	v_mul_f16_e64 v113, v147, v142
	s_delay_alu instid0(VALU_DEP_2) | instskip(NEXT) | instid1(VALU_DEP_2)
	v_mul_f16_e64 v128, v147, v49
	v_fma_f16 v113, v11, v49, -v113
	s_delay_alu instid0(VALU_DEP_2) | instskip(SKIP_2) | instid1(VALU_DEP_2)
	v_fmac_f16_e64 v128, v11, v142
	v_lshrrev_b32_e32 v142, 16, v143
	v_lshrrev_b32_e32 v11, 16, v200
	v_mul_f16_e64 v49, v134, v142
	v_mul_f16_e64 v134, v134, v143
	s_delay_alu instid0(VALU_DEP_3)
	v_mul_f16_e64 v48, v129, v11
	v_lshrrev_b32_e32 v129, 16, v202
	v_fma_f16 v10, v13, v11, -v126
	v_fmac_f16_e64 v49, v15, v143
	v_fma_f16 v11, v15, v142, -v134
	ds_load_2addr_b32 v[142:143], v92 offset0:64 offset1:224
	v_fmac_f16_e64 v48, v13, v200
	v_mul_f16_e64 v47, v131, v129
	ds_load_2addr_b32 v[199:200], v87 offset1:160
	v_mul_f16_e64 v131, v131, v202
	v_mul_f16_e64 v134, v139, v203
	v_fmac_f16_e64 v47, v14, v202
	ds_load_2addr_b32 v[201:202], v91 offset0:64 offset1:224
	v_fma_f16 v12, v14, v129, -v131
	s_wait_dscnt 0x2
	v_lshrrev_b32_e32 v13, 16, v142
	v_mul_f16_e64 v15, v133, v142
	s_wait_dscnt 0x1
	v_mul_f16_e64 v126, v136, v199
	s_delay_alu instid0(VALU_DEP_3) | instskip(NEXT) | instid1(VALU_DEP_3)
	v_mul_f16_e64 v14, v133, v13
	v_fma_f16 v15, v4, v13, -v15
	v_lshrrev_b32_e32 v13, 16, v199
	s_wait_dscnt 0x0
	v_mul_f16_e64 v129, v138, v201
	v_fmac_f16_e64 v14, v4, v142
	v_lshrrev_b32_e32 v142, 16, v204
	v_mul_f16_e64 v133, v136, v13
	v_fma_f16 v131, v5, v13, -v126
	v_lshrrev_b32_e32 v13, 16, v201
	v_add_f16_e64 v206, v206, v15
	v_add_f16_e64 v208, v208, v14
	v_fmac_f16_e64 v133, v5, v199
	v_sub_f16_e64 v213, v113, v131
	v_mul_f16_e64 v126, v138, v13
	v_fma_f16 v129, v6, v13, -v129
	v_lshrrev_b32_e32 v13, 16, v203
	v_lshrrev_b32_e32 v138, 16, v200
	v_add_f16_e64 v211, v128, v133
	v_fmac_f16_e64 v126, v6, v201
	v_sub_f16_e64 v201, v15, v129
	v_mul_f16_e64 v136, v139, v13
	v_fma_f16 v134, v7, v13, -v134
	v_lshrrev_b32_e32 v139, 16, v202
	v_mul_f16_e64 v6, v130, v138
	v_mul_f16_e64 v130, v130, v200
	v_fmac_f16_e64 v136, v7, v203
	v_lshrrev_b32_e32 v7, 16, v143
	v_mul_f16_e64 v5, v132, v139
	v_mul_f16_e64 v132, v132, v202
	v_fmac_f16_e64 v6, v1, v200
	v_mul_f16_e64 v13, v135, v142
	v_mul_f16_e32 v4, v127, v7
	v_mul_f16_e64 v127, v127, v143
	v_mul_f16_e64 v135, v135, v204
	v_fmac_f16_e64 v5, v2, v202
	v_fmac_f16_e64 v13, v3, v204
	;; [unrolled: 1-line block ×3, first 2 shown]
	v_fma_f16 v7, v0, v7, -v127
	v_fma_f16 v0, v1, v138, -v130
	;; [unrolled: 1-line block ×3, first 2 shown]
	ds_load_2addr_b32 v[138:139], v88 offset0:64 offset1:224
	v_fma_f16 v2, v3, v142, -v135
	v_sub_f16_e64 v132, v136, v133
	v_sub_f16_e64 v199, v14, v126
	v_add_f16_e64 v206, v206, v129
	v_add_f16_e64 v208, v208, v126
	v_sub_f16_e64 v212, v54, v134
	v_sub_f16_e64 v215, v112, v136
	;; [unrolled: 1-line block ×3, first 2 shown]
	s_wait_dscnt 0x0
	v_lshrrev_b32_e32 v3, 16, v138
	v_mul_f16_e64 v127, v115, v138
	s_delay_alu instid0(VALU_DEP_2) | instskip(NEXT) | instid1(VALU_DEP_2)
	v_mul_f16_e32 v115, v115, v3
	v_fma_f16 v3, v111, v3, -v127
	v_sub_f16_e64 v127, v134, v131
	s_delay_alu instid0(VALU_DEP_3) | instskip(SKIP_1) | instid1(VALU_DEP_4)
	v_fmac_f16_e64 v115, v111, v138
	v_sub_f16_e32 v111, v54, v113
	v_sub_f16_e64 v130, v3, v129
	v_add_f16_e64 v138, v14, v126
	v_sub_f16_e64 v200, v53, v3
	v_sub_f16_e64 v135, v115, v126
	v_add_f16_e32 v111, v111, v127
	v_sub_f16_e32 v127, v53, v15
	v_sub_f16_e64 v147, v52, v115
	v_fma_f16 v138, -0.5, v138, v50
	v_add_f16_e64 v206, v206, v3
	v_add_f16_e64 v208, v208, v115
	;; [unrolled: 1-line block ×3, first 2 shown]
	v_sub_f16_e64 v130, v112, v128
	v_fma_f16 v143, 0xbb9c, v200, v138
	v_fmac_f16_e64 v138, 0x3b9c, v200
	s_delay_alu instid0(VALU_DEP_3) | instskip(SKIP_1) | instid1(VALU_DEP_4)
	v_add_f16_e64 v130, v130, v132
	v_sub_f16_e64 v132, v52, v14
	v_fmac_f16_e64 v143, 0xb8b4, v201
	v_sub_f16_e32 v14, v14, v52
	v_add_f16_e32 v52, v52, v115
	v_fmac_f16_e64 v138, 0x38b4, v201
	v_add_f16_e64 v132, v132, v135
	v_add_f16_e64 v135, v15, v129
	v_sub_f16_e32 v15, v15, v53
	v_add_f16_e32 v53, v53, v3
	v_sub_f16_e64 v3, v129, v3
	v_fmac_f16_e64 v143, 0x34f2, v132
	v_fma_f16 v135, -0.5, v135, v51
	v_fmac_f16_e32 v50, -0.5, v52
	v_fmac_f16_e32 v51, -0.5, v53
	v_add_f16_e32 v3, v15, v3
	v_fmac_f16_e64 v138, 0x34f2, v132
	v_fma_f16 v142, 0x3b9c, v147, v135
	v_fma_f16 v52, 0x3b9c, v201, v50
	;; [unrolled: 1-line block ×3, first 2 shown]
	v_fmac_f16_e64 v51, 0x3b9c, v199
	v_fmac_f16_e64 v50, 0xbb9c, v201
	;; [unrolled: 1-line block ×9, first 2 shown]
	v_fmac_f16_e32 v15, 0x34f2, v3
	v_fmac_f16_e32 v51, 0x34f2, v3
	s_delay_alu instid0(VALU_DEP_4) | instskip(SKIP_2) | instid1(VALU_DEP_3)
	v_mul_f16_e64 v202, 0xb8b4, v142
	v_mul_f16_e64 v203, 0x3a79, v142
	v_fmac_f16_e64 v135, 0xb8b4, v199
	v_fmac_f16_e64 v202, 0x3a79, v143
	s_delay_alu instid0(VALU_DEP_3)
	v_fmac_f16_e64 v203, 0x38b4, v143
	ds_load_2addr_b32 v[142:143], v104 offset1:160
	v_fmac_f16_e64 v135, 0x34f2, v127
	global_wb scope:SCOPE_SE
	s_wait_dscnt 0x0
	s_barrier_signal -1
	s_barrier_wait -1
	global_inv scope:SCOPE_SE
	v_lshrrev_b32_e32 v204, 16, v142
	v_add_f16_e64 v207, v142, v112
	v_fma_f16 v211, -0.5, v211, v142
	s_delay_alu instid0(VALU_DEP_3) | instskip(NEXT) | instid1(VALU_DEP_3)
	v_add_f16_e64 v205, v204, v54
	v_add_f16_e64 v207, v207, v128
	v_sub_f16_e64 v128, v128, v112
	v_add_f16_e64 v112, v112, v136
	v_fma_f16 v214, 0xbb9c, v212, v211
	v_add_f16_e64 v205, v205, v113
	v_add_f16_e64 v207, v207, v133
	v_sub_f16_e64 v133, v133, v136
	v_fma_f16 v112, -0.5, v112, v142
	v_fmac_f16_e64 v211, 0x3b9c, v212
	v_add_f16_e64 v205, v205, v131
	v_add_f16_e64 v207, v207, v136
	;; [unrolled: 1-line block ×3, first 2 shown]
	v_fma_f16 v133, 0x3b9c, v213, v112
	v_fmac_f16_e64 v112, 0xbb9c, v213
	v_add_f16_e64 v205, v205, v134
	v_add_f16_e64 v210, v207, v208
	v_fmac_f16_e64 v211, 0x38b4, v213
	v_fmac_f16_e64 v133, 0xb8b4, v212
	;; [unrolled: 1-line block ×3, first 2 shown]
	v_add_f16_e64 v209, v205, v206
	v_fmac_f16_e64 v214, 0xb8b4, v213
	v_fmac_f16_e64 v211, 0x34f2, v130
	v_fmac_f16_e64 v133, 0x34f2, v128
	v_fmac_f16_e64 v112, 0x34f2, v128
	v_pack_b32_f16 v209, v210, v209
	v_add_f16_e64 v210, v113, v131
	v_sub_f16_e32 v113, v113, v54
	v_add_f16_e64 v54, v54, v134
	v_sub_f16_e64 v131, v131, v134
	v_fmac_f16_e64 v214, 0x34f2, v130
	v_fma_f16 v210, -0.5, v210, v204
	v_sub_f16_e64 v134, v48, v49
	v_fmac_f16_e64 v204, -0.5, v54
	v_sub_f16_e32 v54, v126, v115
	v_add_f16_e64 v53, v113, v131
	v_fma_f16 v217, 0x3b9c, v215, v210
	v_fmac_f16_e64 v210, 0xbb9c, v215
	v_fma_f16 v3, 0xbb9c, v216, v204
	v_add_f16_e32 v14, v14, v54
	v_fmac_f16_e64 v204, 0x3b9c, v216
	v_fmac_f16_e64 v217, 0x38b4, v216
	;; [unrolled: 1-line block ×4, first 2 shown]
	v_fmac_f16_e32 v52, 0x34f2, v14
	v_fmac_f16_e32 v50, 0x34f2, v14
	v_mul_f16_e32 v14, 0xbb9c, v15
	v_mul_f16_e32 v15, 0x34f2, v15
	v_fmac_f16_e64 v204, 0xb8b4, v215
	v_fmac_f16_e32 v3, 0x34f2, v53
	v_fmac_f16_e64 v210, 0x34f2, v111
	v_fmac_f16_e32 v14, 0x34f2, v52
	v_fmac_f16_e32 v15, 0x3b9c, v52
	v_mul_f16_e32 v52, 0xbb9c, v51
	v_mul_f16_e32 v51, 0xb4f2, v51
	v_fmac_f16_e64 v204, 0x34f2, v53
	v_fmac_f16_e64 v217, 0x34f2, v111
	v_add_f16_e32 v53, v3, v15
	v_fmac_f16_e32 v52, 0xb4f2, v50
	v_fmac_f16_e32 v51, 0x3b9c, v50
	v_add_f16_e64 v50, v133, v14
	v_sub_f16_e64 v111, v205, v206
	v_sub_f16_e64 v14, v133, v14
	v_sub_f16_e32 v3, v3, v15
	v_add_f16_e64 v54, v204, v51
	v_pack_b32_f16 v50, v50, v53
	v_add_f16_e32 v53, v112, v52
	v_add_f16_e64 v218, v214, v202
	v_pack_b32_f16 v3, v14, v3
	v_add_f16_e64 v219, v217, v203
	v_sub_f16_e64 v131, v10, v2
	v_pack_b32_f16 v53, v53, v54
	v_sub_f16_e64 v54, v207, v208
	v_sub_f16_e64 v128, v11, v0
	v_pack_b32_f16 v218, v218, v219
	ds_store_2addr_b32 v108, v50, v53 offset0:20 offset1:30
	v_mul_f16_e64 v50, 0xb8b4, v135
	v_mul_f16_e64 v53, 0xba79, v135
	v_pack_b32_f16 v54, v54, v111
	v_sub_f16_e64 v111, v217, v203
	ds_store_2addr_b32 v108, v209, v218 offset1:10
	v_fmac_f16_e64 v50, 0xba79, v138
	v_fmac_f16_e64 v53, 0x38b4, v138
	v_sub_f16_e64 v135, v13, v6
	s_delay_alu instid0(VALU_DEP_3) | instskip(NEXT) | instid1(VALU_DEP_3)
	v_add_f16_e64 v113, v211, v50
	v_add_f16_e64 v115, v210, v53
	v_sub_f16_e64 v14, v211, v50
	v_sub_f16_e64 v50, v210, v53
	v_add_f16_e64 v134, v134, v135
	s_delay_alu instid0(VALU_DEP_4) | instskip(SKIP_1) | instid1(VALU_DEP_4)
	v_pack_b32_f16 v113, v113, v115
	v_sub_f16_e32 v115, v7, v1
	v_pack_b32_f16 v14, v14, v50
	v_add_f16_e32 v50, v48, v13
	ds_store_2addr_b32 v108, v113, v54 offset0:40 offset1:50
	v_sub_f16_e64 v54, v214, v202
	s_delay_alu instid0(VALU_DEP_1)
	v_pack_b32_f16 v15, v54, v111
	v_add_f16_e32 v54, v9, v12
	ds_store_2addr_b32 v108, v15, v3 offset0:60 offset1:70
	v_sub_f16_e32 v3, v112, v52
	v_sub_f16_e64 v15, v204, v51
	v_lshrrev_b32_e32 v51, 16, v143
	v_add_f16_e64 v52, v143, v48
	v_sub_f16_e32 v112, v6, v13
	s_delay_alu instid0(VALU_DEP_4) | instskip(SKIP_1) | instid1(VALU_DEP_4)
	v_pack_b32_f16 v3, v3, v15
	v_mul_f16_e64 v15, v110, v139
	v_add_f16_e32 v52, v52, v49
	ds_store_2addr_b32 v108, v3, v14 offset0:80 offset1:90
	v_lshrrev_b32_e32 v3, 16, v139
	v_add_f16_e32 v52, v52, v6
	s_delay_alu instid0(VALU_DEP_2) | instskip(SKIP_2) | instid1(VALU_DEP_4)
	v_mul_f16_e32 v14, v110, v3
	v_fma_f16 v3, v109, v3, -v15
	v_add_f16_e32 v15, v49, v6
	v_add_f16_e32 v52, v52, v13
	v_sub_f16_e32 v13, v48, v13
	v_fmac_f16_e64 v14, v109, v139
	v_add_f16_e32 v53, v12, v3
	v_fma_f16 v15, -0.5, v15, v143
	v_fmac_f16_e64 v143, -0.5, v50
	v_add_f16_e32 v50, v7, v1
	v_add_f16_e32 v108, v47, v14
	;; [unrolled: 1-line block ×3, first 2 shown]
	v_sub_f16_e32 v110, v5, v14
	v_sub_f16_e32 v111, v1, v3
	v_fma_f16 v50, -0.5, v50, v9
	v_fmac_f16_e32 v9, -0.5, v53
	v_add_f16_e32 v53, v4, v5
	v_sub_f16_e32 v6, v49, v6
	v_sub_f16_e32 v127, v47, v14
	v_sub_f16_e64 v130, v12, v3
	v_fma_f16 v129, 0x3b9c, v128, v143
	v_fma_f16 v53, -0.5, v53, v8
	v_fmac_f16_e32 v8, -0.5, v108
	v_sub_f16_e32 v108, v4, v47
	v_fmac_f16_e64 v143, 0xbb9c, v128
	v_fmac_f16_e64 v129, 0xb8b4, v131
	s_delay_alu instid0(VALU_DEP_4) | instskip(NEXT) | instid1(VALU_DEP_4)
	v_fmamk_f16 v126, v115, 0x3b9c, v8
	v_add_f16_e32 v108, v108, v110
	v_sub_f16_e32 v110, v7, v12
	v_sub_f16_e32 v12, v12, v7
	v_add_f16_e32 v7, v54, v7
	v_fma_f16 v54, 0xbb9c, v131, v15
	v_fmac_f16_e32 v8, 0xbb9c, v115
	v_add_f16_e32 v110, v110, v111
	v_sub_f16_e32 v111, v49, v48
	v_sub_f16_e32 v48, v10, v11
	;; [unrolled: 1-line block ×3, first 2 shown]
	v_fmac_f16_e64 v54, 0xb8b4, v128
	v_fmac_f16_e64 v126, 0xb8b4, v130
	v_add_f16_e32 v111, v111, v112
	v_sub_f16_e32 v112, v4, v5
	v_add_f16_e32 v48, v48, v49
	v_add_f16_e32 v49, v109, v4
	v_sub_f16_e32 v4, v47, v4
	v_fmac_f16_e64 v54, 0x34f2, v134
	v_fmamk_f16 v113, v112, 0xbb9c, v9
	v_fmac_f16_e32 v9, 0x3b9c, v112
	v_add_f16_e32 v47, v49, v5
	v_sub_f16_e32 v5, v14, v5
	v_fmac_f16_e64 v8, 0x38b4, v130
	v_fmac_f16_e32 v113, 0x38b4, v127
	v_fmac_f16_e32 v9, 0xb8b4, v127
	v_add_f16_e32 v14, v47, v14
	v_add_f16_e32 v4, v4, v5
	;; [unrolled: 1-line block ×3, first 2 shown]
	v_sub_f16_e32 v1, v3, v1
	v_fma_f16 v7, 0xbb9c, v130, v53
	v_add_f16_e32 v47, v52, v14
	v_fmac_f16_e32 v113, 0x34f2, v110
	v_add_f16_e32 v3, v5, v3
	v_fmamk_f16 v5, v127, 0x3b9c, v50
	v_add_f16_e32 v1, v12, v1
	v_fmac_f16_e32 v7, 0xb8b4, v115
	v_fmac_f16_e32 v9, 0x34f2, v110
	;; [unrolled: 1-line block ×6, first 2 shown]
	v_fmac_f16_e64 v143, 0x38b4, v131
	v_fmac_f16_e32 v8, 0x34f2, v108
	v_fmac_f16_e32 v5, 0x34f2, v1
	v_mul_f16_e64 v132, 0xbb9c, v9
	v_fmac_f16_e64 v129, 0x34f2, v111
	v_mul_f16_e32 v9, 0xb4f2, v9
	v_fmac_f16_e64 v53, 0x3b9c, v130
	v_mul_f16_e32 v12, 0xb8b4, v5
	v_mul_f16_e32 v5, 0x3a79, v5
	v_fmac_f16_e32 v50, 0xb8b4, v112
	v_fmac_f16_e64 v143, 0x34f2, v111
	v_fmac_f16_e64 v132, 0xb4f2, v8
	v_fmac_f16_e32 v12, 0x3a79, v7
	v_fmac_f16_e32 v5, 0x38b4, v7
	v_add_f16_e32 v7, v51, v10
	v_fmac_f16_e32 v9, 0x3b9c, v8
	v_fmac_f16_e64 v15, 0x3b9c, v131
	v_add_f16_e64 v135, v54, v12
	v_fmac_f16_e32 v53, 0x38b4, v115
	v_add_f16_e32 v7, v7, v11
	v_fmac_f16_e32 v50, 0x34f2, v1
	v_add_f16_e64 v133, v143, v132
	v_fmac_f16_e64 v15, 0x38b4, v128
	v_fmac_f16_e32 v53, 0x34f2, v4
	v_add_f16_e32 v7, v7, v0
	v_mul_f16_e32 v1, 0xb8b4, v50
	v_mul_f16_e32 v4, 0xba79, v50
	v_fmac_f16_e64 v15, 0x34f2, v134
	v_sub_f16_e64 v132, v143, v132
	v_add_f16_e32 v7, v7, v2
	v_fmac_f16_e32 v1, 0xba79, v53
	v_fmac_f16_e32 v4, 0x38b4, v53
	s_delay_alu instid0(VALU_DEP_3) | instskip(SKIP_1) | instid1(VALU_DEP_4)
	v_add_f16_e32 v49, v7, v3
	v_sub_f16_e32 v3, v7, v3
	v_add_f16_e32 v7, v15, v1
	s_delay_alu instid0(VALU_DEP_3) | instskip(SKIP_2) | instid1(VALU_DEP_2)
	v_pack_b32_f16 v47, v47, v49
	v_add_f16_e32 v49, v11, v0
	v_sub_f16_e32 v0, v0, v2
	v_fma_f16 v49, -0.5, v49, v51
	s_delay_alu instid0(VALU_DEP_1) | instskip(SKIP_1) | instid1(VALU_DEP_2)
	v_fmamk_f16 v109, v13, 0x3b9c, v49
	v_fmac_f16_e32 v49, 0xbb9c, v13
	v_fmac_f16_e32 v109, 0x38b4, v6
	s_delay_alu instid0(VALU_DEP_2) | instskip(NEXT) | instid1(VALU_DEP_2)
	v_fmac_f16_e32 v49, 0xb8b4, v6
	v_fmac_f16_e32 v109, 0x34f2, v48
	s_delay_alu instid0(VALU_DEP_2) | instskip(NEXT) | instid1(VALU_DEP_2)
	v_fmac_f16_e32 v49, 0x34f2, v48
	v_add_f16_e64 v136, v109, v5
	v_sub_f16_e32 v5, v109, v5
	s_delay_alu instid0(VALU_DEP_2) | instskip(SKIP_3) | instid1(VALU_DEP_2)
	v_pack_b32_f16 v135, v135, v136
	ds_store_2addr_b32 v114, v47, v135 offset1:10
	v_add_f16_e32 v47, v10, v2
	v_sub_f16_e32 v10, v11, v10
	v_fmac_f16_e32 v51, -0.5, v47
	s_delay_alu instid0(VALU_DEP_2) | instskip(SKIP_1) | instid1(VALU_DEP_3)
	v_add_f16_e32 v0, v10, v0
	v_mul_f16_e32 v10, 0x34f2, v113
	v_fmamk_f16 v2, v6, 0xbb9c, v51
	v_fmac_f16_e32 v51, 0x3b9c, v6
	s_delay_alu instid0(VALU_DEP_3) | instskip(SKIP_1) | instid1(VALU_DEP_4)
	v_fmac_f16_e32 v10, 0x3b9c, v126
	v_sub_f16_e32 v6, v52, v14
	v_fmac_f16_e32 v2, 0x38b4, v13
	s_delay_alu instid0(VALU_DEP_4) | instskip(NEXT) | instid1(VALU_DEP_3)
	v_fmac_f16_e32 v51, 0xb8b4, v13
	v_pack_b32_f16 v3, v6, v3
	s_delay_alu instid0(VALU_DEP_3) | instskip(NEXT) | instid1(VALU_DEP_3)
	v_fmac_f16_e32 v2, 0x34f2, v0
	v_fmac_f16_e32 v51, 0x34f2, v0
	v_mul_f16_e32 v0, 0xbb9c, v113
	s_delay_alu instid0(VALU_DEP_3) | instskip(SKIP_1) | instid1(VALU_DEP_3)
	v_add_f16_e32 v11, v2, v10
	v_sub_f16_e32 v2, v2, v10
	v_fmac_f16_e32 v0, 0x34f2, v126
	s_delay_alu instid0(VALU_DEP_1) | instskip(SKIP_1) | instid1(VALU_DEP_2)
	v_add_f16_e64 v8, v129, v0
	v_sub_f16_e64 v0, v129, v0
	v_pack_b32_f16 v8, v8, v11
	v_add_f16_e32 v11, v51, v9
	s_delay_alu instid0(VALU_DEP_3) | instskip(SKIP_1) | instid1(VALU_DEP_3)
	v_pack_b32_f16 v0, v0, v2
	v_sub_f16_e32 v2, v49, v4
	v_pack_b32_f16 v11, v133, v11
	ds_store_2addr_b32 v114, v8, v11 offset0:20 offset1:30
	v_add_f16_e32 v8, v49, v4
	s_delay_alu instid0(VALU_DEP_1) | instskip(SKIP_2) | instid1(VALU_DEP_1)
	v_pack_b32_f16 v7, v7, v8
	ds_store_2addr_b32 v114, v7, v3 offset0:40 offset1:50
	v_sub_f16_e32 v3, v54, v12
	v_pack_b32_f16 v3, v3, v5
	ds_store_2addr_b32 v114, v3, v0 offset0:60 offset1:70
	v_sub_f16_e32 v0, v15, v1
	v_sub_f16_e32 v1, v51, v9
	s_delay_alu instid0(VALU_DEP_2) | instskip(NEXT) | instid1(VALU_DEP_2)
	v_pack_b32_f16 v0, v0, v2
	v_pack_b32_f16 v1, v132, v1
	ds_store_2addr_b32 v114, v1, v0 offset0:80 offset1:90
	global_wb scope:SCOPE_SE
	s_wait_dscnt 0x0
	s_barrier_signal -1
	s_barrier_wait -1
	global_inv scope:SCOPE_SE
	ds_load_2addr_b32 v[0:1], v106 offset0:64 offset1:224
	s_wait_dscnt 0x0
	v_lshrrev_b32_e32 v2, 16, v0
	v_mul_f16_e64 v3, v165, v0
	s_delay_alu instid0(VALU_DEP_2) | instskip(NEXT) | instid1(VALU_DEP_2)
	v_mul_f16_e64 v6, v165, v2
	v_fma_f16 v7, v25, v2, -v3
	ds_load_2addr_b32 v[2:3], v92 offset0:64 offset1:224
	v_fmac_f16_e32 v6, v25, v0
	v_lshrrev_b32_e32 v0, 16, v1
	s_wait_dscnt 0x0
	v_lshrrev_b32_e32 v4, 16, v3
	v_mul_f16_e64 v5, v156, v3
	s_delay_alu instid0(VALU_DEP_2) | instskip(NEXT) | instid1(VALU_DEP_2)
	v_mul_f16_e64 v8, v156, v4
	v_fma_f16 v9, v26, v4, -v5
	ds_load_2addr_b32 v[4:5], v86 offset1:160
	v_fmac_f16_e32 v8, v26, v3
	s_wait_dscnt 0x0
	v_lshrrev_b32_e32 v10, 16, v4
	v_mul_f16_e64 v11, v159, v4
	v_lshrrev_b32_e32 v3, 16, v5
	s_delay_alu instid0(VALU_DEP_3) | instskip(NEXT) | instid1(VALU_DEP_3)
	v_mul_f16_e64 v12, v159, v10
	v_fma_f16 v10, v27, v10, -v11
	v_mul_f16_e64 v11, v158, v0
	s_delay_alu instid0(VALU_DEP_4) | instskip(NEXT) | instid1(VALU_DEP_4)
	v_mul_f16_e64 v13, v157, v3
	v_fmac_f16_e32 v12, v27, v4
	v_mul_f16_e64 v4, v157, v5
	s_delay_alu instid0(VALU_DEP_4) | instskip(SKIP_4) | instid1(VALU_DEP_4)
	v_fmac_f16_e32 v11, v31, v1
	v_mul_f16_e64 v1, v158, v1
	v_fmac_f16_e32 v13, v33, v5
	v_sub_f16_e32 v12, v6, v12
	v_sub_f16_e32 v10, v7, v10
	v_fma_f16 v5, v31, v0, -v1
	ds_load_2addr_b32 v[0:1], v87 offset1:160
	v_fma_f16 v6, v6, 2.0, -v12
	v_fma_f16 v7, v7, 2.0, -v10
	s_wait_dscnt 0x0
	v_lshrrev_b32_e32 v14, 16, v0
	v_mul_f16_e64 v15, v161, v0
	s_delay_alu instid0(VALU_DEP_2) | instskip(NEXT) | instid1(VALU_DEP_2)
	v_mul_f16_e64 v25, v161, v14
	v_fma_f16 v14, v32, v14, -v15
	v_fma_f16 v15, v33, v3, -v4
	v_lshrrev_b32_e32 v3, 16, v1
	v_mul_f16_e64 v4, v167, v1
	v_fmac_f16_e32 v25, v32, v0
	s_delay_alu instid0(VALU_DEP_3) | instskip(NEXT) | instid1(VALU_DEP_1)
	v_mul_f16_e64 v26, v167, v3
	v_fmac_f16_e32 v26, v29, v1
	ds_load_2addr_b32 v[0:1], v103 offset1:160
	v_fma_f16 v29, v29, v3, -v4
	ds_load_2addr_b32 v[3:4], v88 offset0:64 offset1:224
	s_wait_dscnt 0x1
	v_lshrrev_b32_e32 v27, 16, v0
	v_mul_f16_e64 v31, v168, v0
	s_wait_dscnt 0x0
	v_mul_f16_e64 v33, v166, v3
	s_delay_alu instid0(VALU_DEP_3) | instskip(NEXT) | instid1(VALU_DEP_3)
	v_mul_f16_e64 v32, v168, v27
	v_fma_f16 v27, v28, v27, -v31
	v_lshrrev_b32_e32 v31, 16, v3
	s_delay_alu instid0(VALU_DEP_3) | instskip(SKIP_1) | instid1(VALU_DEP_3)
	v_fmac_f16_e32 v32, v28, v0
	v_lshrrev_b32_e32 v0, 16, v1
	v_mul_f16_e64 v47, v166, v31
	v_fma_f16 v31, v30, v31, -v33
	s_delay_alu instid0(VALU_DEP_3) | instskip(NEXT) | instid1(VALU_DEP_3)
	v_mul_f16_e64 v28, v171, v0
	v_fmac_f16_e32 v47, v30, v3
	v_lshrrev_b32_e32 v3, 16, v4
	s_delay_alu instid0(VALU_DEP_3) | instskip(SKIP_1) | instid1(VALU_DEP_3)
	v_fmac_f16_e32 v28, v19, v1
	v_mul_f16_e64 v1, v171, v1
	v_mul_f16_e64 v30, v170, v3
	s_delay_alu instid0(VALU_DEP_2) | instskip(SKIP_3) | instid1(VALU_DEP_1)
	v_fma_f16 v19, v19, v0, -v1
	ds_load_2addr_b32 v[0:1], v91 offset0:64 offset1:224
	v_fmac_f16_e32 v30, v21, v4
	v_mul_f16_e64 v4, v170, v4
	v_fma_f16 v21, v21, v3, -v4
	s_wait_dscnt 0x0
	v_lshrrev_b32_e32 v33, 16, v0
	v_mul_f16_e64 v48, v169, v0
	v_lshrrev_b32_e32 v4, 16, v1
	s_delay_alu instid0(VALU_DEP_3) | instskip(NEXT) | instid1(VALU_DEP_3)
	v_mul_f16_e64 v49, v169, v33
	v_fma_f16 v33, v20, v33, -v48
	v_mul_f16_e32 v48, v121, v1
	s_delay_alu instid0(VALU_DEP_3) | instskip(SKIP_2) | instid1(VALU_DEP_4)
	v_fmac_f16_e32 v49, v20, v0
	v_lshrrev_b32_e32 v0, 16, v2
	v_mul_f16_e32 v20, v121, v4
	v_fma_f16 v4, v18, v4, -v48
	s_delay_alu instid0(VALU_DEP_3) | instskip(NEXT) | instid1(VALU_DEP_3)
	v_mul_f16_e32 v3, v119, v0
	v_fmac_f16_e32 v20, v18, v1
	s_delay_alu instid0(VALU_DEP_2) | instskip(SKIP_1) | instid1(VALU_DEP_1)
	v_fmac_f16_e32 v3, v17, v2
	v_mul_f16_e32 v2, v119, v2
	v_fma_f16 v17, v17, v0, -v2
	ds_load_2addr_b32 v[0:1], v105 offset1:160
	s_wait_dscnt 0x0
	v_lshrrev_b32_e32 v2, 16, v1
	v_mul_f16_e32 v50, v117, v1
	s_delay_alu instid0(VALU_DEP_2) | instskip(NEXT) | instid1(VALU_DEP_2)
	v_mul_f16_e32 v51, v117, v2
	v_fma_f16 v50, v16, v2, -v50
	s_delay_alu instid0(VALU_DEP_2) | instskip(SKIP_3) | instid1(VALU_DEP_2)
	v_fmac_f16_e32 v51, v16, v1
	ds_load_2addr_b32 v[1:2], v104 offset1:160
	v_sub_f16_e32 v4, v50, v4
	v_sub_f16_e32 v18, v51, v20
	v_fma_f16 v48, v50, 2.0, -v4
	s_delay_alu instid0(VALU_DEP_2) | instskip(SKIP_3) | instid1(VALU_DEP_2)
	v_fma_f16 v20, v51, 2.0, -v18
	s_wait_dscnt 0x0
	v_lshrrev_b32_e32 v16, 16, v1
	v_sub_f16_e32 v3, v1, v3
	v_sub_f16_e32 v17, v16, v17
	s_delay_alu instid0(VALU_DEP_2) | instskip(NEXT) | instid1(VALU_DEP_2)
	v_fma_f16 v1, v1, 2.0, -v3
	v_fma_f16 v16, v16, 2.0, -v17
	s_delay_alu instid0(VALU_DEP_2) | instskip(SKIP_1) | instid1(VALU_DEP_3)
	v_sub_f16_e32 v20, v1, v20
	v_sub_f16_e32 v18, v17, v18
	;; [unrolled: 1-line block ×3, first 2 shown]
	s_delay_alu instid0(VALU_DEP_3) | instskip(NEXT) | instid1(VALU_DEP_2)
	v_fma_f16 v1, v1, 2.0, -v20
	v_fma_f16 v16, v16, 2.0, -v48
	s_delay_alu instid0(VALU_DEP_1) | instskip(SKIP_2) | instid1(VALU_DEP_2)
	v_pack_b32_f16 v1, v1, v16
	v_add_f16_e32 v16, v3, v4
	v_fma_f16 v4, v17, 2.0, -v18
	v_fma_f16 v3, v3, 2.0, -v16
	v_pack_b32_f16 v16, v16, v18
	s_delay_alu instid0(VALU_DEP_2)
	v_pack_b32_f16 v17, v3, v4
	ds_load_2addr_b32 v[3:4], v107 offset0:64 offset1:224
	global_wb scope:SCOPE_SE
	s_wait_dscnt 0x0
	s_barrier_signal -1
	s_barrier_wait -1
	global_inv scope:SCOPE_SE
	ds_store_2addr_b32 v116, v1, v17 offset1:100
	v_pack_b32_f16 v1, v20, v48
	ds_store_2addr_b32 v118, v1, v16 offset0:72 offset1:172
	v_sub_f16_e32 v1, v2, v8
	v_lshrrev_b32_e32 v8, 16, v2
	s_delay_alu instid0(VALU_DEP_2) | instskip(NEXT) | instid1(VALU_DEP_2)
	v_fma_f16 v2, v2, 2.0, -v1
	v_sub_f16_e32 v9, v8, v9
	s_delay_alu instid0(VALU_DEP_2) | instskip(NEXT) | instid1(VALU_DEP_2)
	v_sub_f16_e32 v6, v2, v6
	v_fma_f16 v8, v8, 2.0, -v9
	s_delay_alu instid0(VALU_DEP_2) | instskip(NEXT) | instid1(VALU_DEP_2)
	v_fma_f16 v2, v2, 2.0, -v6
	v_sub_f16_e32 v7, v8, v7
	s_delay_alu instid0(VALU_DEP_1) | instskip(NEXT) | instid1(VALU_DEP_1)
	v_fma_f16 v8, v8, 2.0, -v7
	v_pack_b32_f16 v2, v2, v8
	v_add_f16_e32 v8, v1, v10
	v_sub_f16_e32 v10, v9, v12
	s_delay_alu instid0(VALU_DEP_2) | instskip(NEXT) | instid1(VALU_DEP_2)
	v_fma_f16 v1, v1, 2.0, -v8
	v_fma_f16 v9, v9, 2.0, -v10
	s_delay_alu instid0(VALU_DEP_1)
	v_pack_b32_f16 v1, v1, v9
	ds_store_2addr_b32 v120, v2, v1 offset1:100
	v_pack_b32_f16 v1, v6, v7
	v_pack_b32_f16 v2, v8, v10
	v_sub_f16_e32 v6, v11, v13
	v_sub_f16_e32 v7, v5, v15
	;; [unrolled: 1-line block ×3, first 2 shown]
	ds_store_2addr_b32 v122, v1, v2 offset0:72 offset1:172
	v_lshrrev_b32_e32 v1, 16, v3
	v_fma_f16 v9, v11, 2.0, -v6
	v_fma_f16 v5, v5, 2.0, -v7
	;; [unrolled: 1-line block ×3, first 2 shown]
	s_delay_alu instid0(VALU_DEP_4) | instskip(NEXT) | instid1(VALU_DEP_2)
	v_sub_f16_e32 v2, v1, v14
	v_sub_f16_e32 v9, v3, v9
	s_delay_alu instid0(VALU_DEP_2) | instskip(SKIP_1) | instid1(VALU_DEP_3)
	v_fma_f16 v1, v1, 2.0, -v2
	v_sub_f16_e32 v6, v2, v6
	v_fma_f16 v3, v3, 2.0, -v9
	s_delay_alu instid0(VALU_DEP_3) | instskip(NEXT) | instid1(VALU_DEP_3)
	v_sub_f16_e32 v5, v1, v5
	v_fma_f16 v2, v2, 2.0, -v6
	s_delay_alu instid0(VALU_DEP_2) | instskip(NEXT) | instid1(VALU_DEP_1)
	v_fma_f16 v1, v1, 2.0, -v5
	v_pack_b32_f16 v1, v3, v1
	v_add_f16_e32 v3, v8, v7
	s_delay_alu instid0(VALU_DEP_1) | instskip(NEXT) | instid1(VALU_DEP_1)
	v_fma_f16 v7, v8, 2.0, -v3
	v_pack_b32_f16 v2, v7, v2
	ds_store_2addr_b32 v124, v1, v2 offset1:100
	v_pack_b32_f16 v1, v9, v5
	v_pack_b32_f16 v2, v3, v6
	v_sub_f16_e32 v5, v32, v47
	v_sub_f16_e32 v6, v27, v31
	ds_store_2addr_b32 v123, v1, v2 offset0:72 offset1:172
	v_sub_f16_e32 v1, v4, v26
	v_lshrrev_b32_e32 v2, 16, v4
	v_fma_f16 v7, v32, 2.0, -v5
	v_fma_f16 v8, v27, 2.0, -v6
	s_delay_alu instid0(VALU_DEP_4) | instskip(NEXT) | instid1(VALU_DEP_4)
	v_fma_f16 v3, v4, 2.0, -v1
	v_sub_f16_e32 v4, v2, v29
	s_delay_alu instid0(VALU_DEP_2) | instskip(NEXT) | instid1(VALU_DEP_2)
	v_sub_f16_e32 v7, v3, v7
	v_fma_f16 v2, v2, 2.0, -v4
	v_sub_f16_e32 v5, v4, v5
	s_delay_alu instid0(VALU_DEP_3) | instskip(NEXT) | instid1(VALU_DEP_3)
	v_fma_f16 v3, v3, 2.0, -v7
	v_sub_f16_e32 v8, v2, v8
	s_delay_alu instid0(VALU_DEP_3) | instskip(NEXT) | instid1(VALU_DEP_2)
	v_fma_f16 v4, v4, 2.0, -v5
	v_fma_f16 v2, v2, 2.0, -v8
	s_delay_alu instid0(VALU_DEP_1) | instskip(SKIP_1) | instid1(VALU_DEP_1)
	v_pack_b32_f16 v2, v3, v2
	v_add_f16_e32 v3, v1, v6
	v_fma_f16 v1, v1, 2.0, -v3
	s_delay_alu instid0(VALU_DEP_1)
	v_pack_b32_f16 v1, v1, v4
	v_sub_f16_e32 v4, v28, v30
	ds_store_2addr_b32 v137, v2, v1 offset1:100
	v_pack_b32_f16 v1, v7, v8
	v_pack_b32_f16 v2, v3, v5
	v_sub_f16_e32 v5, v19, v21
	v_fma_f16 v6, v28, 2.0, -v4
	ds_store_2addr_b32 v141, v1, v2 offset0:72 offset1:172
	v_lshrrev_b32_e32 v2, 16, v0
	v_sub_f16_e32 v1, v0, v49
	v_fma_f16 v7, v19, 2.0, -v5
	s_delay_alu instid0(VALU_DEP_3) | instskip(NEXT) | instid1(VALU_DEP_3)
	v_sub_f16_e32 v3, v2, v33
	v_fma_f16 v0, v0, 2.0, -v1
	s_delay_alu instid0(VALU_DEP_2) | instskip(NEXT) | instid1(VALU_DEP_2)
	v_fma_f16 v2, v2, 2.0, -v3
	v_sub_f16_e32 v6, v0, v6
	v_sub_f16_e32 v4, v3, v4
	s_delay_alu instid0(VALU_DEP_3) | instskip(NEXT) | instid1(VALU_DEP_3)
	v_sub_f16_e32 v7, v2, v7
	v_fma_f16 v0, v0, 2.0, -v6
	s_delay_alu instid0(VALU_DEP_3) | instskip(NEXT) | instid1(VALU_DEP_3)
	v_fma_f16 v3, v3, 2.0, -v4
	v_fma_f16 v2, v2, 2.0, -v7
	s_delay_alu instid0(VALU_DEP_1) | instskip(SKIP_1) | instid1(VALU_DEP_1)
	v_pack_b32_f16 v0, v0, v2
	v_add_f16_e32 v2, v1, v5
	v_fma_f16 v1, v1, 2.0, -v2
	s_delay_alu instid0(VALU_DEP_1)
	v_pack_b32_f16 v1, v1, v3
	ds_store_2addr_b32 v148, v0, v1 offset1:100
	v_pack_b32_f16 v0, v6, v7
	v_pack_b32_f16 v1, v2, v4
	ds_store_2addr_b32 v152, v0, v1 offset0:72 offset1:172
	global_wb scope:SCOPE_SE
	s_wait_dscnt 0x0
	s_barrier_signal -1
	s_barrier_wait -1
	global_inv scope:SCOPE_SE
	ds_load_2addr_b32 v[0:1], v106 offset0:64 offset1:224
	s_wait_dscnt 0x0
	v_lshrrev_b32_e32 v2, 16, v0
	v_mul_f16_e64 v3, v198, v0
	s_delay_alu instid0(VALU_DEP_2) | instskip(NEXT) | instid1(VALU_DEP_2)
	v_mul_f16_e64 v6, v198, v2
	v_fma_f16 v7, v40, v2, -v3
	ds_load_2addr_b32 v[2:3], v92 offset0:64 offset1:224
	v_fmac_f16_e32 v6, v40, v0
	v_lshrrev_b32_e32 v0, 16, v1
	s_wait_dscnt 0x0
	v_lshrrev_b32_e32 v4, 16, v3
	v_mul_f16_e64 v5, v172, v3
	s_delay_alu instid0(VALU_DEP_2) | instskip(NEXT) | instid1(VALU_DEP_2)
	v_mul_f16_e64 v8, v172, v4
	v_fma_f16 v9, v41, v4, -v5
	ds_load_2addr_b32 v[4:5], v86 offset1:160
	v_fmac_f16_e32 v8, v41, v3
	s_wait_dscnt 0x0
	v_lshrrev_b32_e32 v10, 16, v4
	v_mul_f16_e64 v11, v194, v4
	v_lshrrev_b32_e32 v3, 16, v5
	s_delay_alu instid0(VALU_DEP_3) | instskip(NEXT) | instid1(VALU_DEP_3)
	v_mul_f16_e64 v12, v194, v10
	v_fma_f16 v10, v42, v10, -v11
	v_mul_f16_e64 v11, v197, v0
	s_delay_alu instid0(VALU_DEP_4) | instskip(NEXT) | instid1(VALU_DEP_4)
	v_mul_f16_e64 v13, v196, v3
	v_fmac_f16_e32 v12, v42, v4
	v_mul_f16_e64 v4, v196, v5
	s_delay_alu instid0(VALU_DEP_4) | instskip(SKIP_4) | instid1(VALU_DEP_4)
	v_fmac_f16_e32 v11, v43, v1
	v_mul_f16_e64 v1, v197, v1
	v_fmac_f16_e32 v13, v45, v5
	v_sub_f16_e32 v12, v6, v12
	v_sub_f16_e32 v10, v7, v10
	v_fma_f16 v5, v43, v0, -v1
	ds_load_2addr_b32 v[0:1], v87 offset1:160
	v_fma_f16 v6, v6, 2.0, -v12
	v_fma_f16 v7, v7, 2.0, -v10
	s_wait_dscnt 0x0
	v_lshrrev_b32_e32 v14, 16, v0
	v_mul_f16_e64 v15, v195, v0
	s_delay_alu instid0(VALU_DEP_2) | instskip(NEXT) | instid1(VALU_DEP_2)
	v_mul_f16_e64 v16, v195, v14
	v_fma_f16 v14, v44, v14, -v15
	v_fma_f16 v15, v45, v3, -v4
	v_lshrrev_b32_e32 v3, 16, v1
	v_mul_f16_e64 v4, v192, v1
	v_fmac_f16_e32 v16, v44, v0
	s_delay_alu instid0(VALU_DEP_3) | instskip(NEXT) | instid1(VALU_DEP_1)
	v_mul_f16_e64 v17, v192, v3
	v_fmac_f16_e32 v17, v38, v1
	ds_load_2addr_b32 v[0:1], v103 offset1:160
	s_wait_dscnt 0x0
	v_lshrrev_b32_e32 v18, 16, v0
	v_mul_f16_e64 v19, v193, v0
	s_delay_alu instid0(VALU_DEP_2) | instskip(NEXT) | instid1(VALU_DEP_2)
	v_mul_f16_e64 v20, v193, v18
	v_fma_f16 v18, v37, v18, -v19
	v_fma_f16 v19, v38, v3, -v4
	ds_load_2addr_b32 v[3:4], v88 offset0:64 offset1:224
	v_fmac_f16_e32 v20, v37, v0
	v_lshrrev_b32_e32 v0, 16, v1
	s_wait_dscnt 0x0
	v_lshrrev_b32_e32 v21, 16, v3
	v_mul_f16_e64 v25, v191, v3
	s_delay_alu instid0(VALU_DEP_2) | instskip(NEXT) | instid1(VALU_DEP_2)
	v_mul_f16_e64 v26, v191, v21
	v_fma_f16 v21, v39, v21, -v25
	v_lshrrev_b32_e32 v25, 16, v4
	s_delay_alu instid0(VALU_DEP_3) | instskip(SKIP_1) | instid1(VALU_DEP_3)
	v_fmac_f16_e32 v26, v39, v3
	v_mul_f16_e64 v3, v189, v0
	v_mul_f16_e64 v27, v190, v25
	s_delay_alu instid0(VALU_DEP_2) | instskip(SKIP_1) | instid1(VALU_DEP_3)
	v_fmac_f16_e32 v3, v34, v1
	v_mul_f16_e64 v1, v189, v1
	v_fmac_f16_e32 v27, v36, v4
	v_mul_f16_e64 v4, v190, v4
	s_delay_alu instid0(VALU_DEP_3) | instskip(SKIP_3) | instid1(VALU_DEP_2)
	v_fma_f16 v28, v34, v0, -v1
	ds_load_2addr_b32 v[0:1], v91 offset0:64 offset1:224
	v_fma_f16 v4, v36, v25, -v4
	v_lshrrev_b32_e32 v25, 16, v2
	v_sub_f16_e32 v4, v28, v4
	s_wait_dscnt 0x0
	v_lshrrev_b32_e32 v29, 16, v0
	v_lshrrev_b32_e32 v32, 16, v1
	v_mul_f16_e64 v30, v187, v0
	v_mul_f16_e64 v34, v155, v1
	s_delay_alu instid0(VALU_DEP_4) | instskip(NEXT) | instid1(VALU_DEP_4)
	v_mul_f16_e64 v31, v187, v29
	v_mul_f16_e64 v33, v155, v32
	s_delay_alu instid0(VALU_DEP_4) | instskip(SKIP_1) | instid1(VALU_DEP_4)
	v_fma_f16 v29, v35, v29, -v30
	v_mul_f16_e64 v30, v151, v25
	v_fmac_f16_e32 v31, v35, v0
	s_delay_alu instid0(VALU_DEP_4) | instskip(SKIP_4) | instid1(VALU_DEP_2)
	v_fmac_f16_e32 v33, v24, v1
	ds_load_2addr_b32 v[0:1], v105 offset1:160
	v_fmac_f16_e32 v30, v23, v2
	v_mul_f16_e64 v2, v151, v2
	v_fma_f16 v24, v24, v32, -v34
	v_fma_f16 v23, v23, v25, -v2
	s_wait_dscnt 0x0
	v_lshrrev_b32_e32 v35, 16, v1
	v_mul_f16_e64 v36, v154, v1
	s_delay_alu instid0(VALU_DEP_2) | instskip(NEXT) | instid1(VALU_DEP_2)
	v_mul_f16_e64 v37, v154, v35
	v_fma_f16 v35, v22, v35, -v36
	s_delay_alu instid0(VALU_DEP_2) | instskip(SKIP_3) | instid1(VALU_DEP_2)
	v_fmac_f16_e32 v37, v22, v1
	ds_load_2addr_b32 v[1:2], v104 offset1:160
	v_sub_f16_e32 v24, v35, v24
	v_sub_f16_e32 v32, v37, v33
	v_fma_f16 v34, v35, 2.0, -v24
	s_delay_alu instid0(VALU_DEP_2)
	v_fma_f16 v33, v37, 2.0, -v32
	s_wait_dscnt 0x0
	v_lshrrev_b32_e32 v25, 16, v1
	v_sub_f16_e32 v22, v1, v30
	v_lshrrev_b32_e32 v30, 16, v2
	v_sub_f16_e32 v8, v2, v8
	s_delay_alu instid0(VALU_DEP_4) | instskip(NEXT) | instid1(VALU_DEP_4)
	v_sub_f16_e32 v23, v25, v23
	v_fma_f16 v1, v1, 2.0, -v22
	s_delay_alu instid0(VALU_DEP_4) | instskip(NEXT) | instid1(VALU_DEP_4)
	v_sub_f16_e32 v9, v30, v9
	v_fma_f16 v2, v2, 2.0, -v8
	v_add_f16_e32 v10, v8, v10
	v_fma_f16 v25, v25, 2.0, -v23
	v_sub_f16_e32 v33, v1, v33
	v_sub_f16_e32 v12, v9, v12
	;; [unrolled: 1-line block ×3, first 2 shown]
	v_fma_f16 v8, v8, 2.0, -v10
	v_sub_f16_e32 v34, v25, v34
	v_fma_f16 v1, v1, 2.0, -v33
	s_delay_alu instid0(VALU_DEP_4) | instskip(NEXT) | instid1(VALU_DEP_3)
	v_fma_f16 v2, v2, 2.0, -v6
	v_fma_f16 v25, v25, 2.0, -v34
	s_delay_alu instid0(VALU_DEP_1) | instskip(SKIP_2) | instid1(VALU_DEP_2)
	v_pack_b32_f16 v25, v1, v25
	v_add_f16_e32 v1, v22, v24
	v_sub_f16_e32 v24, v23, v32
	v_fma_f16 v22, v22, 2.0, -v1
	s_delay_alu instid0(VALU_DEP_2) | instskip(SKIP_3) | instid1(VALU_DEP_4)
	v_fma_f16 v23, v23, 2.0, -v24
	v_pack_b32_f16 v24, v1, v24
	v_fma_f16 v1, v30, 2.0, -v9
	v_fma_f16 v9, v9, 2.0, -v12
	v_pack_b32_f16 v22, v22, v23
	v_pack_b32_f16 v23, v33, v34
	s_delay_alu instid0(VALU_DEP_4) | instskip(NEXT) | instid1(VALU_DEP_4)
	v_sub_f16_e32 v7, v1, v7
	v_pack_b32_f16 v8, v8, v9
	s_delay_alu instid0(VALU_DEP_2)
	v_fma_f16 v1, v1, 2.0, -v7
	v_pack_b32_f16 v6, v6, v7
	v_pack_b32_f16 v7, v10, v12
	v_sub_f16_e32 v12, v11, v13
	v_sub_f16_e32 v13, v5, v15
	v_pack_b32_f16 v30, v2, v1
	ds_load_2addr_b32 v[1:2], v107 offset0:64 offset1:224
	global_wb scope:SCOPE_SE
	s_wait_dscnt 0x0
	v_fma_f16 v11, v11, 2.0, -v12
	v_fma_f16 v5, v5, 2.0, -v13
	s_barrier_signal -1
	s_barrier_wait -1
	global_inv scope:SCOPE_SE
	ds_store_b32 v104, v22 offset:1600
	ds_store_b32 v104, v23 offset:3200
	;; [unrolled: 1-line block ×3, first 2 shown]
	ds_store_2addr_b32 v104, v25, v30 offset1:160
	v_lshrrev_b32_e32 v9, 16, v1
	s_delay_alu instid0(VALU_DEP_1) | instskip(SKIP_1) | instid1(VALU_DEP_2)
	v_sub_f16_e32 v10, v9, v14
	v_sub_f16_e32 v14, v1, v16
	v_fma_f16 v9, v9, 2.0, -v10
	s_delay_alu instid0(VALU_DEP_2) | instskip(SKIP_1) | instid1(VALU_DEP_3)
	v_fma_f16 v1, v1, 2.0, -v14
	v_sub_f16_e32 v12, v10, v12
	v_sub_f16_e32 v5, v9, v5
	s_delay_alu instid0(VALU_DEP_3) | instskip(NEXT) | instid1(VALU_DEP_3)
	v_sub_f16_e32 v11, v1, v11
	v_fma_f16 v10, v10, 2.0, -v12
	s_delay_alu instid0(VALU_DEP_3) | instskip(NEXT) | instid1(VALU_DEP_3)
	v_fma_f16 v9, v9, 2.0, -v5
	v_fma_f16 v1, v1, 2.0, -v11
	v_pack_b32_f16 v5, v11, v5
	s_delay_alu instid0(VALU_DEP_2) | instskip(SKIP_1) | instid1(VALU_DEP_1)
	v_pack_b32_f16 v1, v1, v9
	v_add_f16_e32 v9, v14, v13
	v_fma_f16 v13, v14, 2.0, -v9
	v_pack_b32_f16 v9, v9, v12
	v_fma_f16 v14, v28, 2.0, -v4
	s_delay_alu instid0(VALU_DEP_3)
	v_pack_b32_f16 v10, v13, v10
	ds_store_b32 v104, v8 offset:2240
	ds_store_b32 v104, v6 offset:3840
	;; [unrolled: 1-line block ×3, first 2 shown]
	ds_store_b32 v153, v1
	ds_store_b32 v153, v10 offset:1600
	ds_store_b32 v153, v5 offset:3200
	ds_store_b32 v153, v9 offset:4800
	v_lshrrev_b32_e32 v5, 16, v2
	v_sub_f16_e32 v1, v2, v17
	v_sub_f16_e32 v8, v20, v26
	;; [unrolled: 1-line block ×3, first 2 shown]
	v_lshrrev_b32_e32 v7, 16, v0
	v_sub_f16_e32 v9, v5, v19
	v_fma_f16 v2, v2, 2.0, -v1
	v_fma_f16 v11, v20, 2.0, -v8
	v_fma_f16 v12, v18, 2.0, -v10
	v_sub_f16_e32 v6, v0, v31
	v_fma_f16 v5, v5, 2.0, -v9
	v_sub_f16_e32 v13, v3, v27
	v_sub_f16_e32 v11, v2, v11
	s_delay_alu instid0(VALU_DEP_4) | instskip(NEXT) | instid1(VALU_DEP_4)
	v_fma_f16 v0, v0, 2.0, -v6
	v_sub_f16_e32 v12, v5, v12
	s_delay_alu instid0(VALU_DEP_4) | instskip(NEXT) | instid1(VALU_DEP_4)
	v_fma_f16 v3, v3, 2.0, -v13
	v_fma_f16 v2, v2, 2.0, -v11
	s_delay_alu instid0(VALU_DEP_3) | instskip(NEXT) | instid1(VALU_DEP_3)
	v_fma_f16 v5, v5, 2.0, -v12
	v_sub_f16_e32 v3, v0, v3
	s_delay_alu instid0(VALU_DEP_2) | instskip(SKIP_1) | instid1(VALU_DEP_3)
	v_pack_b32_f16 v2, v2, v5
	v_sub_f16_e32 v5, v7, v29
	v_fma_f16 v0, v0, 2.0, -v3
	s_delay_alu instid0(VALU_DEP_2) | instskip(NEXT) | instid1(VALU_DEP_1)
	v_fma_f16 v7, v7, 2.0, -v5
	v_sub_f16_e32 v14, v7, v14
	s_delay_alu instid0(VALU_DEP_1) | instskip(NEXT) | instid1(VALU_DEP_1)
	v_fma_f16 v7, v7, 2.0, -v14
	v_pack_b32_f16 v0, v0, v7
	ds_store_2addr_b32 v163, v2, v0 offset0:16 offset1:176
	v_pack_b32_f16 v0, v11, v12
	v_pack_b32_f16 v2, v3, v14
	ds_store_2addr_b32 v164, v0, v2 offset0:48 offset1:208
	v_add_f16_e32 v0, v1, v10
	v_sub_f16_e32 v2, v9, v8
	s_delay_alu instid0(VALU_DEP_2) | instskip(NEXT) | instid1(VALU_DEP_2)
	v_fma_f16 v1, v1, 2.0, -v0
	v_fma_f16 v3, v9, 2.0, -v2
	v_pack_b32_f16 v0, v0, v2
	s_delay_alu instid0(VALU_DEP_2) | instskip(SKIP_2) | instid1(VALU_DEP_2)
	v_pack_b32_f16 v1, v1, v3
	v_add_f16_e32 v3, v6, v4
	v_sub_f16_e32 v4, v5, v13
	v_fma_f16 v6, v6, 2.0, -v3
	s_delay_alu instid0(VALU_DEP_2) | instskip(NEXT) | instid1(VALU_DEP_1)
	v_fma_f16 v5, v5, 2.0, -v4
	v_pack_b32_f16 v5, v6, v5
	ds_store_2addr_b32 v125, v1, v5 offset0:32 offset1:192
	v_pack_b32_f16 v1, v3, v4
	ds_store_2addr_b32 v88, v0, v1 offset0:64 offset1:224
	global_wb scope:SCOPE_SE
	s_wait_dscnt 0x0
	s_barrier_signal -1
	s_barrier_wait -1
	global_inv scope:SCOPE_SE
	ds_load_2addr_b32 v[0:1], v92 offset0:64 offset1:224
	s_wait_dscnt 0x0
	v_lshrrev_b32_e32 v2, 16, v0
	v_mul_f16_e64 v3, v186, v0
	v_mul_f16_e64 v5, v188, v1
	s_delay_alu instid0(VALU_DEP_3) | instskip(NEXT) | instid1(VALU_DEP_3)
	v_mul_f16_e64 v4, v186, v2
	v_fma_f16 v2, v162, v2, -v3
	s_delay_alu instid0(VALU_DEP_2) | instskip(SKIP_1) | instid1(VALU_DEP_1)
	v_fmac_f16_e64 v4, v162, v0
	v_lshrrev_b32_e32 v0, 16, v1
	v_mul_f16_e64 v3, v188, v0
	v_fma_f16 v5, v160, v0, -v5
	s_delay_alu instid0(VALU_DEP_2)
	v_fmac_f16_e64 v3, v160, v1
	ds_load_2addr_b32 v[0:1], v104 offset1:160
	s_wait_dscnt 0x0
	v_lshrrev_b32_e32 v6, 16, v0
	v_sub_f16_e32 v4, v0, v4
	v_sub_f16_e32 v16, v1, v3
	s_delay_alu instid0(VALU_DEP_3) | instskip(NEXT) | instid1(VALU_DEP_3)
	v_sub_f16_e32 v2, v6, v2
	v_fma_f16 v0, v0, 2.0, -v4
	s_delay_alu instid0(VALU_DEP_2) | instskip(SKIP_3) | instid1(VALU_DEP_4)
	v_fma_f16 v3, v6, 2.0, -v2
	v_pack_b32_f16 v2, v4, v2
	v_lshrrev_b32_e32 v4, 16, v1
	v_fma_f16 v1, v1, 2.0, -v16
	v_pack_b32_f16 v17, v0, v3
	ds_store_b32 v104, v2 offset:6400
	v_sub_f16_e32 v18, v4, v5
	s_delay_alu instid0(VALU_DEP_1) | instskip(NEXT) | instid1(VALU_DEP_1)
	v_fma_f16 v0, v4, 2.0, -v18
	v_pack_b32_f16 v19, v1, v0
	ds_load_2addr_b32 v[0:1], v87 offset1:160
	ds_load_2addr_b32 v[2:3], v91 offset0:64 offset1:224
	ds_load_2addr_b32 v[4:5], v86 offset1:160
	ds_load_2addr_b32 v[6:7], v88 offset0:64 offset1:224
	ds_load_2addr_b32 v[8:9], v107 offset0:64 offset1:224
	ds_load_2addr_b32 v[10:11], v105 offset1:160
	ds_load_2addr_b32 v[12:13], v106 offset0:64 offset1:224
	ds_load_2addr_b32 v[14:15], v103 offset1:160
	ds_store_2addr_b32 v104, v17, v19 offset1:160
	s_wait_dscnt 0x8
	v_lshrrev_b32_e32 v17, 16, v0
	v_mul_f16_e64 v19, v177, v0
	s_delay_alu instid0(VALU_DEP_2) | instskip(NEXT) | instid1(VALU_DEP_2)
	v_mul_f16_e64 v20, v177, v17
	v_fma_f16 v17, v150, v17, -v19
	s_delay_alu instid0(VALU_DEP_2) | instskip(SKIP_3) | instid1(VALU_DEP_3)
	v_fmac_f16_e64 v20, v150, v0
	v_pack_b32_f16 v0, v16, v18
	s_wait_dscnt 0x4
	v_lshrrev_b32_e32 v18, 16, v8
	v_sub_f16_e32 v16, v8, v20
	v_mul_f16_e64 v20, v181, v1
	s_delay_alu instid0(VALU_DEP_3) | instskip(NEXT) | instid1(VALU_DEP_3)
	v_sub_f16_e32 v17, v18, v17
	v_fma_f16 v8, v8, 2.0, -v16
	s_delay_alu instid0(VALU_DEP_2) | instskip(SKIP_3) | instid1(VALU_DEP_1)
	v_pack_b32_f16 v19, v16, v17
	v_lshrrev_b32_e32 v16, 16, v9
	ds_store_2addr_b32 v179, v0, v19 offset0:32 offset1:192
	v_lshrrev_b32_e32 v0, 16, v1
	v_mul_f16_e64 v19, v181, v0
	v_fma_f16 v0, v149, v0, -v20
	v_mul_f16_e64 v20, v182, v5
	s_delay_alu instid0(VALU_DEP_3) | instskip(SKIP_1) | instid1(VALU_DEP_4)
	v_fmac_f16_e64 v19, v149, v1
	v_fma_f16 v1, v18, 2.0, -v17
	v_sub_f16_e32 v0, v16, v0
	s_delay_alu instid0(VALU_DEP_3) | instskip(NEXT) | instid1(VALU_DEP_3)
	v_sub_f16_e32 v17, v9, v19
	v_pack_b32_f16 v1, v8, v1
	s_delay_alu instid0(VALU_DEP_3) | instskip(SKIP_1) | instid1(VALU_DEP_4)
	v_fma_f16 v8, v16, 2.0, -v0
	v_mul_f16_e64 v16, v184, v3
	v_fma_f16 v9, v9, 2.0, -v17
	v_pack_b32_f16 v0, v17, v0
	s_delay_alu instid0(VALU_DEP_2) | instskip(SKIP_3) | instid1(VALU_DEP_2)
	v_pack_b32_f16 v8, v9, v8
	ds_store_2addr_b32 v107, v1, v8 offset0:64 offset1:224
	v_lshrrev_b32_e32 v1, 16, v2
	v_mul_f16_e64 v8, v183, v2
	v_mul_f16_e64 v9, v183, v1
	s_delay_alu instid0(VALU_DEP_2) | instskip(SKIP_2) | instid1(VALU_DEP_3)
	v_fma_f16 v1, v146, v1, -v8
	s_wait_dscnt 0x5
	v_lshrrev_b32_e32 v8, 16, v10
	v_fmac_f16_e64 v9, v146, v2
	s_delay_alu instid0(VALU_DEP_2) | instskip(NEXT) | instid1(VALU_DEP_2)
	v_sub_f16_e32 v1, v8, v1
	v_sub_f16_e32 v2, v10, v9
	s_delay_alu instid0(VALU_DEP_1)
	v_pack_b32_f16 v9, v2, v1
	v_fma_f16 v2, v10, 2.0, -v2
	v_fma_f16 v1, v8, 2.0, -v1
	ds_store_2addr_b32 v125, v0, v9 offset0:32 offset1:192
	v_lshrrev_b32_e32 v0, 16, v3
	v_pack_b32_f16 v1, v2, v1
	s_delay_alu instid0(VALU_DEP_2) | instskip(SKIP_2) | instid1(VALU_DEP_3)
	v_mul_f16_e64 v9, v184, v0
	v_fma_f16 v0, v144, v0, -v16
	v_mul_f16_e64 v16, v185, v4
	v_fmac_f16_e64 v9, v144, v3
	v_lshrrev_b32_e32 v3, 16, v4
	s_delay_alu instid0(VALU_DEP_1) | instskip(NEXT) | instid1(VALU_DEP_4)
	v_mul_f16_e64 v17, v185, v3
	v_fma_f16 v3, v145, v3, -v16
	v_lshrrev_b32_e32 v16, 16, v11
	s_delay_alu instid0(VALU_DEP_3) | instskip(SKIP_1) | instid1(VALU_DEP_3)
	v_fmac_f16_e64 v17, v145, v4
	v_sub_f16_e32 v4, v11, v9
	v_sub_f16_e32 v0, v16, v0
	s_wait_dscnt 0x5
	s_delay_alu instid0(VALU_DEP_3) | instskip(SKIP_1) | instid1(VALU_DEP_3)
	v_sub_f16_e32 v9, v12, v17
	v_lshrrev_b32_e32 v17, 16, v12
	v_pack_b32_f16 v18, v4, v0
	v_fma_f16 v4, v11, 2.0, -v4
	v_fma_f16 v0, v16, 2.0, -v0
	;; [unrolled: 1-line block ×3, first 2 shown]
	v_sub_f16_e32 v3, v17, v3
	s_delay_alu instid0(VALU_DEP_3) | instskip(NEXT) | instid1(VALU_DEP_2)
	v_pack_b32_f16 v0, v4, v0
	v_pack_b32_f16 v19, v9, v3
	ds_store_2addr_b32 v105, v1, v0 offset1:160
	v_fma_f16 v0, v17, 2.0, -v3
	ds_store_2addr_b32 v180, v18, v19 offset0:32 offset1:192
	v_lshrrev_b32_e32 v18, 16, v5
	v_lshrrev_b32_e32 v3, 16, v13
	v_pack_b32_f16 v0, v2, v0
	s_delay_alu instid0(VALU_DEP_3) | instskip(NEXT) | instid1(VALU_DEP_1)
	v_mul_f16_e64 v19, v182, v18
	v_fmac_f16_e64 v19, v140, v5
	v_fma_f16 v5, v140, v18, -v20
	s_delay_alu instid0(VALU_DEP_2) | instskip(NEXT) | instid1(VALU_DEP_2)
	v_sub_f16_e32 v1, v13, v19
	v_sub_f16_e32 v2, v3, v5
	v_mul_f16_e64 v5, v178, v7
	s_delay_alu instid0(VALU_DEP_3) | instskip(NEXT) | instid1(VALU_DEP_3)
	v_fma_f16 v4, v13, 2.0, -v1
	v_fma_f16 v3, v3, 2.0, -v2
	v_pack_b32_f16 v1, v1, v2
	s_delay_alu instid0(VALU_DEP_2) | instskip(SKIP_3) | instid1(VALU_DEP_2)
	v_pack_b32_f16 v3, v4, v3
	ds_store_2addr_b32 v106, v0, v3 offset0:64 offset1:224
	v_lshrrev_b32_e32 v0, 16, v6
	v_mul_f16_e64 v3, v175, v6
	v_mul_f16_e64 v4, v175, v0
	s_delay_alu instid0(VALU_DEP_2) | instskip(SKIP_2) | instid1(VALU_DEP_3)
	v_fma_f16 v0, v174, v0, -v3
	s_wait_dscnt 0x7
	v_lshrrev_b32_e32 v3, 16, v14
	v_fmac_f16_e64 v4, v174, v6
	s_delay_alu instid0(VALU_DEP_2) | instskip(NEXT) | instid1(VALU_DEP_2)
	v_sub_f16_e32 v0, v3, v0
	v_sub_f16_e32 v2, v14, v4
	s_delay_alu instid0(VALU_DEP_1)
	v_pack_b32_f16 v4, v2, v0
	v_fma_f16 v0, v3, 2.0, -v0
	v_lshrrev_b32_e32 v3, 16, v15
	v_fma_f16 v2, v14, 2.0, -v2
	ds_store_2addr_b32 v176, v1, v4 offset0:32 offset1:192
	v_lshrrev_b32_e32 v1, 16, v7
	v_pack_b32_f16 v0, v2, v0
	s_delay_alu instid0(VALU_DEP_2) | instskip(SKIP_1) | instid1(VALU_DEP_2)
	v_mul_f16_e64 v4, v178, v1
	v_fma_f16 v1, v173, v1, -v5
	v_fmac_f16_e64 v4, v173, v7
	s_delay_alu instid0(VALU_DEP_2) | instskip(NEXT) | instid1(VALU_DEP_2)
	v_sub_f16_e32 v1, v3, v1
	v_sub_f16_e32 v5, v15, v4
	s_delay_alu instid0(VALU_DEP_2) | instskip(NEXT) | instid1(VALU_DEP_2)
	v_fma_f16 v2, v3, 2.0, -v1
	v_fma_f16 v4, v15, 2.0, -v5
	s_delay_alu instid0(VALU_DEP_1) | instskip(SKIP_2) | instid1(VALU_DEP_1)
	v_pack_b32_f16 v2, v4, v2
	ds_store_2addr_b32 v103, v0, v2 offset1:160
	v_mad_co_u64_u32 v[2:3], null, s14, v46, 0
	v_mov_b32_e32 v0, v3
	s_delay_alu instid0(VALU_DEP_1)
	v_mad_co_u64_u32 v[3:4], null, s15, v46, v[0:1]
	v_pack_b32_f16 v0, v5, v1
	s_mul_u64 s[14:15], s[12:13], 0x500
	ds_store_b32 v104, v0 offset:12160
	global_wb scope:SCOPE_SE
	s_wait_dscnt 0x0
	s_barrier_signal -1
	s_barrier_wait -1
	global_inv scope:SCOPE_SE
	ds_load_2addr_b32 v[4:5], v104 offset1:160
	v_lshlrev_b64_e32 v[2:3], 2, v[2:3]
	s_wait_dscnt 0x0
	v_lshrrev_b32_e32 v29, 16, v4
	v_mul_f16_e32 v0, v102, v4
	s_delay_alu instid0(VALU_DEP_1) | instskip(SKIP_1) | instid1(VALU_DEP_2)
	v_fma_f16 v0, v98, v29, -v0
	v_mul_f16_e32 v29, v102, v29
	v_cvt_f32_f16_e32 v0, v0
	s_delay_alu instid0(VALU_DEP_2) | instskip(NEXT) | instid1(VALU_DEP_2)
	v_fmac_f16_e32 v29, v98, v4
	v_cvt_f64_f32_e32 v[0:1], v0
	s_delay_alu instid0(VALU_DEP_2) | instskip(NEXT) | instid1(VALU_DEP_2)
	v_cvt_f32_f16_e32 v4, v29
	v_mul_f64_e32 v[0:1], s[10:11], v[0:1]
	s_delay_alu instid0(VALU_DEP_1) | instskip(SKIP_3) | instid1(VALU_DEP_4)
	v_and_or_b32 v0, 0x1ff, v1, v0
	v_lshrrev_b32_e32 v6, 8, v1
	v_bfe_u32 v15, v1, 20, 11
	v_lshrrev_b32_e32 v1, 16, v1
	v_cmp_ne_u32_e32 vcc_lo, 0, v0
	s_wait_alu 0xfffd
	v_cndmask_b32_e64 v0, 0, 1, vcc_lo
	s_delay_alu instid0(VALU_DEP_1) | instskip(SKIP_2) | instid1(VALU_DEP_3)
	v_and_or_b32 v0, 0xffe, v6, v0
	v_sub_nc_u32_e32 v6, 0x3f1, v15
	v_add_nc_u32_e32 v15, 0xfffffc10, v15
	v_or_b32_e32 v7, 0x1000, v0
	s_delay_alu instid0(VALU_DEP_3) | instskip(SKIP_1) | instid1(VALU_DEP_2)
	v_med3_i32 v6, v6, 0, 13
	v_cmp_ne_u32_e64 s7, 0, v0
	v_lshrrev_b32_e32 v16, v6, v7
	s_delay_alu instid0(VALU_DEP_1) | instskip(NEXT) | instid1(VALU_DEP_1)
	v_lshlrev_b32_e32 v6, v6, v16
	v_cmp_ne_u32_e64 s3, v6, v7
	v_mad_co_u64_u32 v[6:7], null, s12, v100, 0
	s_delay_alu instid0(VALU_DEP_1) | instskip(SKIP_4) | instid1(VALU_DEP_1)
	v_mad_co_u64_u32 v[7:8], null, s13, v100, v[7:8]
	ds_load_2addr_b32 v[8:9], v107 offset0:64 offset1:224
	s_wait_dscnt 0x0
	v_lshrrev_b32_e32 v25, 16, v8
	v_mul_f16_e32 v10, v99, v8
	v_fma_f16 v10, v95, v25, -v10
	v_mul_f16_e32 v25, v99, v25
	s_delay_alu instid0(VALU_DEP_2) | instskip(NEXT) | instid1(VALU_DEP_2)
	v_cvt_f32_f16_e32 v10, v10
	v_fmac_f16_e32 v25, v95, v8
	s_delay_alu instid0(VALU_DEP_2) | instskip(NEXT) | instid1(VALU_DEP_2)
	v_cvt_f64_f32_e32 v[10:11], v10
	v_cvt_f32_f16_e32 v8, v25
	s_delay_alu instid0(VALU_DEP_2) | instskip(NEXT) | instid1(VALU_DEP_1)
	v_mul_f64_e32 v[13:14], s[10:11], v[10:11]
	v_and_or_b32 v10, 0x1ff, v14, v13
	v_lshrrev_b32_e32 v11, 8, v14
	v_bfe_u32 v27, v14, 20, 11
	v_lshrrev_b32_e32 v14, 16, v14
	s_delay_alu instid0(VALU_DEP_4)
	v_cmp_ne_u32_e32 vcc_lo, 0, v10
	s_wait_alu 0xfffd
	v_cndmask_b32_e64 v10, 0, 1, vcc_lo
	v_add_co_u32 v20, vcc_lo, s0, v2
	s_wait_alu 0xfffd
	v_add_co_ci_u32_e32 v17, vcc_lo, s1, v3, vcc_lo
	v_lshlrev_b64_e32 v[2:3], 2, v[6:7]
	ds_load_2addr_b32 v[6:7], v105 offset1:160
	v_and_or_b32 v26, 0xffe, v11, v10
	v_sub_nc_u32_e32 v10, 0x3f1, v27
	v_add_nc_u32_e32 v27, 0xfffffc10, v27
	v_add_co_u32 v30, vcc_lo, v20, v2
	s_wait_alu 0xfffd
	v_add_co_ci_u32_e32 v31, vcc_lo, v17, v3, vcc_lo
	v_med3_i32 v10, v10, 0, 13
	v_or_b32_e32 v11, 0x1000, v26
	s_delay_alu instid0(VALU_DEP_1) | instskip(SKIP_3) | instid1(VALU_DEP_3)
	v_lshrrev_b32_e32 v28, v10, v11
	s_wait_dscnt 0x0
	v_lshrrev_b32_e32 v18, 16, v6
	v_mul_f16_e32 v2, v96, v6
	v_lshlrev_b32_e32 v10, v10, v28
	s_delay_alu instid0(VALU_DEP_2) | instskip(NEXT) | instid1(VALU_DEP_2)
	v_fma_f16 v2, v93, v18, -v2
	v_cmp_ne_u32_e64 s2, v10, v11
	s_delay_alu instid0(VALU_DEP_2) | instskip(NEXT) | instid1(VALU_DEP_1)
	v_cvt_f32_f16_e32 v2, v2
	v_cvt_f64_f32_e32 v[2:3], v2
	s_delay_alu instid0(VALU_DEP_1) | instskip(NEXT) | instid1(VALU_DEP_1)
	v_mul_f64_e32 v[10:11], s[10:11], v[2:3]
	v_and_or_b32 v2, 0x1ff, v11, v10
	v_lshrrev_b32_e32 v3, 8, v11
	v_bfe_u32 v21, v11, 20, 11
	v_lshrrev_b32_e32 v11, 16, v11
	s_delay_alu instid0(VALU_DEP_4) | instskip(SKIP_2) | instid1(VALU_DEP_1)
	v_cmp_ne_u32_e32 vcc_lo, 0, v2
	s_wait_alu 0xfffd
	v_cndmask_b32_e64 v2, 0, 1, vcc_lo
	v_and_or_b32 v19, 0xffe, v3, v2
	v_sub_nc_u32_e32 v2, 0x3f1, v21
	v_add_nc_u32_e32 v21, 0xfffffc10, v21
	s_delay_alu instid0(VALU_DEP_3) | instskip(NEXT) | instid1(VALU_DEP_3)
	v_or_b32_e32 v3, 0x1000, v19
	v_med3_i32 v2, v2, 0, 13
	s_delay_alu instid0(VALU_DEP_1) | instskip(NEXT) | instid1(VALU_DEP_1)
	v_lshrrev_b32_e32 v22, v2, v3
	v_lshlrev_b32_e32 v2, v2, v22
	s_delay_alu instid0(VALU_DEP_1) | instskip(SKIP_4) | instid1(VALU_DEP_1)
	v_cmp_ne_u32_e32 vcc_lo, v2, v3
	ds_load_2addr_b32 v[2:3], v106 offset0:64 offset1:224
	s_wait_dscnt 0x0
	v_lshrrev_b32_e32 v10, 16, v2
	v_mul_f16_e32 v12, v94, v2
	v_fma_f16 v12, v90, v10, -v12
	s_delay_alu instid0(VALU_DEP_1) | instskip(NEXT) | instid1(VALU_DEP_1)
	v_cvt_f32_f16_e32 v12, v12
	v_cvt_f64_f32_e32 v[12:13], v12
	s_delay_alu instid0(VALU_DEP_1) | instskip(NEXT) | instid1(VALU_DEP_1)
	v_mul_f64_e32 v[12:13], s[10:11], v[12:13]
	v_and_or_b32 v12, 0x1ff, v13, v12
	v_lshrrev_b32_e32 v23, 8, v13
	s_delay_alu instid0(VALU_DEP_2) | instskip(SKIP_1) | instid1(VALU_DEP_1)
	v_cmp_ne_u32_e64 s0, 0, v12
	s_wait_alu 0xf1ff
	v_cndmask_b32_e64 v12, 0, 1, s0
	s_delay_alu instid0(VALU_DEP_1) | instskip(SKIP_1) | instid1(VALU_DEP_2)
	v_and_or_b32 v12, 0xffe, v23, v12
	v_bfe_u32 v23, v13, 20, 11
	v_or_b32_e32 v33, 0x1000, v12
	s_delay_alu instid0(VALU_DEP_2) | instskip(NEXT) | instid1(VALU_DEP_1)
	v_sub_nc_u32_e32 v24, 0x3f1, v23
	v_med3_i32 v32, v24, 0, 13
	s_delay_alu instid0(VALU_DEP_1) | instskip(NEXT) | instid1(VALU_DEP_1)
	v_lshrrev_b32_e32 v24, v32, v33
	v_lshlrev_b32_e32 v32, v32, v24
	s_delay_alu instid0(VALU_DEP_1) | instskip(SKIP_1) | instid1(VALU_DEP_1)
	v_cmp_ne_u32_e64 s0, v32, v33
	v_cvt_f64_f32_e32 v[32:33], v4
	v_mul_f64_e32 v[32:33], s[10:11], v[32:33]
	s_delay_alu instid0(VALU_DEP_1) | instskip(SKIP_1) | instid1(VALU_DEP_2)
	v_and_or_b32 v4, 0x1ff, v33, v32
	v_lshrrev_b32_e32 v29, 8, v33
	v_cmp_ne_u32_e64 s1, 0, v4
	s_wait_alu 0xf1ff
	s_delay_alu instid0(VALU_DEP_1) | instskip(NEXT) | instid1(VALU_DEP_1)
	v_cndmask_b32_e64 v4, 0, 1, s1
	v_and_or_b32 v4, 0xffe, v29, v4
	v_bfe_u32 v29, v33, 20, 11
	s_delay_alu instid0(VALU_DEP_2) | instskip(NEXT) | instid1(VALU_DEP_2)
	v_or_b32_e32 v34, 0x1000, v4
	v_sub_nc_u32_e32 v32, 0x3f1, v29
	v_add_nc_u32_e32 v29, 0xfffffc10, v29
	v_cmp_ne_u32_e64 s4, 0, v4
	s_delay_alu instid0(VALU_DEP_3) | instskip(NEXT) | instid1(VALU_DEP_1)
	v_med3_i32 v32, v32, 0, 13
	v_lshrrev_b32_e32 v35, v32, v34
	s_delay_alu instid0(VALU_DEP_1) | instskip(NEXT) | instid1(VALU_DEP_1)
	v_lshlrev_b32_e32 v32, v32, v35
	v_cmp_ne_u32_e64 s1, v32, v34
	v_lshl_or_b32 v34, v29, 12, v4
	s_wait_alu 0xf1ff
	s_delay_alu instid0(VALU_DEP_2) | instskip(SKIP_1) | instid1(VALU_DEP_2)
	v_cndmask_b32_e64 v32, 0, 1, s1
	v_cmp_gt_i32_e64 s1, 1, v29
	v_or_b32_e32 v32, v35, v32
	s_wait_alu 0xf1ff
	s_delay_alu instid0(VALU_DEP_1) | instskip(SKIP_3) | instid1(VALU_DEP_2)
	v_cndmask_b32_e64 v32, v34, v32, s1
	s_wait_alu 0xfffe
	v_cndmask_b32_e64 v34, 0, 1, s3
	v_cmp_gt_i32_e64 s1, 1, v15
	v_or_b32_e32 v16, v16, v34
	v_lshl_or_b32 v34, v15, 12, v0
	v_lshrrev_b32_e32 v0, 2, v32
	s_wait_alu 0xf1ff
	s_delay_alu instid0(VALU_DEP_2) | instskip(SKIP_1) | instid1(VALU_DEP_2)
	v_cndmask_b32_e64 v16, v34, v16, s1
	v_and_b32_e32 v34, 7, v32
	v_and_b32_e32 v4, 7, v16
	s_delay_alu instid0(VALU_DEP_2) | instskip(SKIP_2) | instid1(VALU_DEP_4)
	v_cmp_lt_i32_e64 s1, 5, v34
	v_cmp_eq_u32_e64 s3, 3, v34
	v_lshrrev_b32_e32 v16, 2, v16
	v_cmp_lt_i32_e64 s5, 5, v4
	v_cmp_eq_u32_e64 s6, 3, v4
	s_delay_alu instid0(VALU_DEP_4) | instskip(SKIP_4) | instid1(VALU_DEP_3)
	s_or_b32 s1, s3, s1
	v_cndmask_b32_e64 v4, 0, 1, s4
	s_wait_alu 0xfffe
	v_add_co_ci_u32_e64 v0, s1, 0, v0, s1
	v_cmp_gt_i32_e64 s1, 31, v29
	v_lshl_or_b32 v4, v4, 9, 0x7c00
	s_wait_alu 0xf1ff
	s_delay_alu instid0(VALU_DEP_2) | instskip(SKIP_3) | instid1(VALU_DEP_2)
	v_cndmask_b32_e64 v0, 0x7c00, v0, s1
	v_cmp_eq_u32_e64 s1, 0x40f, v29
	v_cndmask_b32_e64 v29, 0, 1, s7
	s_wait_alu 0xf1ff
	v_cndmask_b32_e64 v0, v0, v4, s1
	s_or_b32 s1, s6, s5
	v_lshrrev_b32_e32 v4, 16, v33
	s_wait_alu 0xfffe
	v_add_co_ci_u32_e64 v16, s1, 0, v16, s1
	v_cmp_gt_i32_e64 s1, 31, v15
	v_lshl_or_b32 v29, v29, 9, 0x7c00
	v_and_or_b32 v0, 0x8000, v4, v0
	s_wait_alu 0xf1ff
	s_delay_alu instid0(VALU_DEP_3) | instskip(SKIP_1) | instid1(VALU_DEP_3)
	v_cndmask_b32_e64 v16, 0x7c00, v16, s1
	v_cmp_eq_u32_e64 s1, 0x40f, v15
	v_and_b32_e32 v0, 0xffff, v0
	s_wait_alu 0xf1ff
	s_delay_alu instid0(VALU_DEP_2) | instskip(SKIP_1) | instid1(VALU_DEP_2)
	v_cndmask_b32_e64 v15, v16, v29, s1
	v_add_co_u32 v29, s1, v30, s14
	v_and_or_b32 v1, 0x8000, v1, v15
	s_delay_alu instid0(VALU_DEP_1)
	v_lshl_or_b32 v0, v1, 16, v0
	global_store_b32 v[30:31], v0, off
	ds_load_2addr_b32 v[0:1], v103 offset1:160
	s_wait_alu 0xf1ff
	v_add_co_ci_u32_e64 v30, s1, s15, v31, s1
	s_wait_dscnt 0x0
	v_lshrrev_b32_e32 v4, 16, v0
	v_mul_f16_e32 v15, v101, v0
	s_delay_alu instid0(VALU_DEP_2) | instskip(NEXT) | instid1(VALU_DEP_2)
	v_mul_f16_e32 v16, v101, v4
	v_fma_f16 v33, v97, v4, -v15
	s_delay_alu instid0(VALU_DEP_2) | instskip(NEXT) | instid1(VALU_DEP_1)
	v_fmac_f16_e32 v16, v97, v0
	v_cvt_f32_f16_e32 v0, v16
	s_delay_alu instid0(VALU_DEP_1) | instskip(NEXT) | instid1(VALU_DEP_1)
	v_cvt_f64_f32_e32 v[15:16], v0
	v_mul_f64_e32 v[15:16], s[10:11], v[15:16]
	s_delay_alu instid0(VALU_DEP_1) | instskip(SKIP_1) | instid1(VALU_DEP_2)
	v_and_or_b32 v0, 0x1ff, v16, v15
	v_lshrrev_b32_e32 v4, 8, v16
	v_cmp_ne_u32_e64 s1, 0, v0
	s_wait_alu 0xf1ff
	s_delay_alu instid0(VALU_DEP_1) | instskip(NEXT) | instid1(VALU_DEP_1)
	v_cndmask_b32_e64 v0, 0, 1, s1
	v_and_or_b32 v0, 0xffe, v4, v0
	v_bfe_u32 v4, v16, 20, 11
	s_delay_alu instid0(VALU_DEP_2) | instskip(NEXT) | instid1(VALU_DEP_2)
	v_or_b32_e32 v32, 0x1000, v0
	v_sub_nc_u32_e32 v15, 0x3f1, v4
	v_add_nc_u32_e32 v4, 0xfffffc10, v4
	s_delay_alu instid0(VALU_DEP_2) | instskip(NEXT) | instid1(VALU_DEP_1)
	v_med3_i32 v31, v15, 0, 13
	v_lshrrev_b32_e32 v15, v31, v32
	s_delay_alu instid0(VALU_DEP_1) | instskip(NEXT) | instid1(VALU_DEP_1)
	v_lshlrev_b32_e32 v31, v31, v15
	v_cmp_ne_u32_e64 s1, v31, v32
	v_cvt_f64_f32_e32 v[31:32], v8
	s_delay_alu instid0(VALU_DEP_1) | instskip(NEXT) | instid1(VALU_DEP_1)
	v_mul_f64_e32 v[31:32], s[10:11], v[31:32]
	v_and_or_b32 v8, 0x1ff, v32, v31
	v_lshrrev_b32_e32 v25, 8, v32
	s_delay_alu instid0(VALU_DEP_2) | instskip(SKIP_1) | instid1(VALU_DEP_1)
	v_cmp_ne_u32_e64 s3, 0, v8
	s_wait_alu 0xf1ff
	v_cndmask_b32_e64 v8, 0, 1, s3
	s_delay_alu instid0(VALU_DEP_1) | instskip(SKIP_1) | instid1(VALU_DEP_2)
	v_and_or_b32 v8, 0xffe, v25, v8
	v_bfe_u32 v25, v32, 20, 11
	v_or_b32_e32 v34, 0x1000, v8
	s_delay_alu instid0(VALU_DEP_2) | instskip(SKIP_2) | instid1(VALU_DEP_3)
	v_sub_nc_u32_e32 v31, 0x3f1, v25
	v_add_nc_u32_e32 v25, 0xfffffc10, v25
	v_cmp_ne_u32_e64 s5, 0, v8
	v_med3_i32 v31, v31, 0, 13
	s_delay_alu instid0(VALU_DEP_1) | instskip(NEXT) | instid1(VALU_DEP_1)
	v_lshrrev_b32_e32 v35, v31, v34
	v_lshlrev_b32_e32 v31, v31, v35
	s_delay_alu instid0(VALU_DEP_1)
	v_cmp_ne_u32_e64 s3, v31, v34
	v_lshl_or_b32 v34, v25, 12, v8
	v_cndmask_b32_e64 v8, 0, 1, s2
	v_cmp_gt_i32_e64 s2, 1, v27
	s_wait_alu 0xf1ff
	v_cndmask_b32_e64 v31, 0, 1, s3
	v_cmp_gt_i32_e64 s3, 1, v25
	v_or_b32_e32 v8, v28, v8
	v_lshl_or_b32 v28, v27, 12, v26
	s_delay_alu instid0(VALU_DEP_4) | instskip(NEXT) | instid1(VALU_DEP_2)
	v_or_b32_e32 v31, v35, v31
	v_cndmask_b32_e64 v8, v28, v8, s2
	s_wait_alu 0xf1ff
	s_delay_alu instid0(VALU_DEP_2) | instskip(NEXT) | instid1(VALU_DEP_1)
	v_cndmask_b32_e64 v31, v34, v31, s3
	v_and_b32_e32 v34, 7, v31
	v_lshrrev_b32_e32 v28, 2, v31
	v_cndmask_b32_e64 v31, 0, 1, s5
	s_delay_alu instid0(VALU_DEP_3) | instskip(SKIP_1) | instid1(VALU_DEP_3)
	v_cmp_lt_i32_e64 s3, 5, v34
	v_cmp_eq_u32_e64 s4, 3, v34
	v_lshl_or_b32 v31, v31, 9, 0x7c00
	s_delay_alu instid0(VALU_DEP_2)
	s_or_b32 s2, s4, s3
	v_cmp_ne_u32_e64 s4, 0, v26
	s_wait_alu 0xfffe
	v_add_co_ci_u32_e64 v28, s2, 0, v28, s2
	v_cmp_gt_i32_e64 s2, 31, v25
	s_wait_alu 0xf1ff
	v_cndmask_b32_e64 v26, 0, 1, s4
	s_delay_alu instid0(VALU_DEP_2) | instskip(SKIP_1) | instid1(VALU_DEP_3)
	v_cndmask_b32_e64 v28, 0x7c00, v28, s2
	v_cmp_eq_u32_e64 s2, 0x40f, v25
	v_lshl_or_b32 v26, v26, 9, 0x7c00
	s_wait_alu 0xf1ff
	s_delay_alu instid0(VALU_DEP_2) | instskip(SKIP_3) | instid1(VALU_DEP_3)
	v_cndmask_b32_e64 v25, v28, v31, s2
	v_and_b32_e32 v31, 7, v8
	v_lshrrev_b32_e32 v8, 2, v8
	v_lshrrev_b32_e32 v28, 16, v32
	v_cmp_lt_i32_e64 s2, 5, v31
	v_cmp_eq_u32_e64 s3, 3, v31
	s_delay_alu instid0(VALU_DEP_3) | instskip(NEXT) | instid1(VALU_DEP_2)
	v_and_or_b32 v25, 0x8000, v28, v25
	s_or_b32 s2, s3, s2
	s_wait_alu 0xfffe
	v_add_co_ci_u32_e64 v8, s2, 0, v8, s2
	v_cmp_gt_i32_e64 s2, 31, v27
	s_wait_alu 0xf1ff
	s_delay_alu instid0(VALU_DEP_1) | instskip(SKIP_2) | instid1(VALU_DEP_1)
	v_cndmask_b32_e64 v8, 0x7c00, v8, s2
	v_cmp_eq_u32_e64 s2, 0x40f, v27
	s_wait_alu 0xf1ff
	v_cndmask_b32_e64 v8, v8, v26, s2
	s_delay_alu instid0(VALU_DEP_1) | instskip(SKIP_4) | instid1(VALU_DEP_3)
	v_and_or_b32 v8, 0x8000, v14, v8
	v_and_b32_e32 v14, 0xffff, v25
	v_add_co_u32 v25, s2, v29, s14
	s_wait_alu 0xf1ff
	v_add_co_ci_u32_e64 v26, s2, s15, v30, s2
	v_lshl_or_b32 v8, v8, 16, v14
	global_store_b32 v[29:30], v8, off
	v_cvt_f32_f16_e32 v8, v33
	s_delay_alu instid0(VALU_DEP_1) | instskip(NEXT) | instid1(VALU_DEP_1)
	v_cvt_f64_f32_e32 v[27:28], v8
	v_mul_f64_e32 v[27:28], s[10:11], v[27:28]
	s_delay_alu instid0(VALU_DEP_1) | instskip(SKIP_2) | instid1(VALU_DEP_3)
	v_and_or_b32 v8, 0x1ff, v28, v27
	v_lshrrev_b32_e32 v14, 8, v28
	v_bfe_u32 v27, v28, 20, 11
	v_cmp_ne_u32_e64 s2, 0, v8
	s_wait_alu 0xf1ff
	s_delay_alu instid0(VALU_DEP_1) | instskip(NEXT) | instid1(VALU_DEP_1)
	v_cndmask_b32_e64 v8, 0, 1, s2
	v_and_or_b32 v14, 0xffe, v14, v8
	v_sub_nc_u32_e32 v8, 0x3f1, v27
	s_delay_alu instid0(VALU_DEP_2) | instskip(NEXT) | instid1(VALU_DEP_2)
	v_or_b32_e32 v29, 0x1000, v14
	v_med3_i32 v8, v8, 0, 13
	s_delay_alu instid0(VALU_DEP_1) | instskip(NEXT) | instid1(VALU_DEP_1)
	v_lshrrev_b32_e32 v33, v8, v29
	v_lshlrev_b32_e32 v8, v8, v33
	s_delay_alu instid0(VALU_DEP_1) | instskip(SKIP_1) | instid1(VALU_DEP_1)
	v_cmp_ne_u32_e64 s2, v8, v29
	v_mad_co_u64_u32 v[29:30], null, s12, v89, 0
	v_mov_b32_e32 v8, v30
	s_delay_alu instid0(VALU_DEP_1) | instskip(SKIP_1) | instid1(VALU_DEP_1)
	v_mad_co_u64_u32 v[30:31], null, s13, v89, v[8:9]
	v_mul_f16_e32 v8, v96, v18
	v_fmac_f16_e32 v8, v93, v6
	s_delay_alu instid0(VALU_DEP_1) | instskip(NEXT) | instid1(VALU_DEP_1)
	v_cvt_f32_f16_e32 v6, v8
	v_cvt_f64_f32_e32 v[31:32], v6
	s_delay_alu instid0(VALU_DEP_1) | instskip(NEXT) | instid1(VALU_DEP_1)
	v_mul_f64_e32 v[31:32], s[10:11], v[31:32]
	v_and_or_b32 v6, 0x1ff, v32, v31
	v_lshrrev_b32_e32 v8, 8, v32
	s_delay_alu instid0(VALU_DEP_2) | instskip(SKIP_1) | instid1(VALU_DEP_1)
	v_cmp_ne_u32_e64 s3, 0, v6
	s_wait_alu 0xf1ff
	v_cndmask_b32_e64 v6, 0, 1, s3
	s_delay_alu instid0(VALU_DEP_1) | instskip(SKIP_1) | instid1(VALU_DEP_2)
	v_and_or_b32 v6, 0xffe, v8, v6
	v_bfe_u32 v8, v32, 20, 11
	v_or_b32_e32 v31, 0x1000, v6
	s_delay_alu instid0(VALU_DEP_2) | instskip(SKIP_2) | instid1(VALU_DEP_3)
	v_sub_nc_u32_e32 v18, 0x3f1, v8
	v_add_nc_u32_e32 v8, 0xfffffc10, v8
	v_cmp_ne_u32_e64 s5, 0, v6
	v_med3_i32 v18, v18, 0, 13
	s_delay_alu instid0(VALU_DEP_1) | instskip(NEXT) | instid1(VALU_DEP_1)
	v_lshrrev_b32_e32 v34, v18, v31
	v_lshlrev_b32_e32 v18, v18, v34
	s_delay_alu instid0(VALU_DEP_1)
	v_cmp_ne_u32_e64 s3, v18, v31
	v_lshl_or_b32 v31, v8, 12, v6
	s_wait_alu 0xfffd
	v_cndmask_b32_e64 v6, 0, 1, vcc_lo
	v_cmp_gt_i32_e32 vcc_lo, 1, v21
	s_wait_alu 0xf1ff
	v_cndmask_b32_e64 v18, 0, 1, s3
	v_cmp_gt_i32_e64 s3, 1, v8
	v_or_b32_e32 v6, v22, v6
	v_lshl_or_b32 v22, v21, 12, v19
	s_delay_alu instid0(VALU_DEP_4) | instskip(SKIP_1) | instid1(VALU_DEP_2)
	v_or_b32_e32 v18, v34, v18
	s_wait_alu 0xfffd
	v_cndmask_b32_e32 v6, v22, v6, vcc_lo
	v_cndmask_b32_e64 v22, 0, 1, s5
	s_wait_alu 0xf1ff
	v_cndmask_b32_e64 v18, v31, v18, s3
	s_delay_alu instid0(VALU_DEP_2) | instskip(NEXT) | instid1(VALU_DEP_2)
	v_lshl_or_b32 v22, v22, 9, 0x7c00
	v_and_b32_e32 v31, 7, v18
	v_lshrrev_b32_e32 v18, 2, v18
	s_delay_alu instid0(VALU_DEP_2) | instskip(SKIP_1) | instid1(VALU_DEP_1)
	v_cmp_lt_i32_e64 s3, 5, v31
	v_cmp_eq_u32_e64 s4, 3, v31
	s_or_b32 vcc_lo, s4, s3
	v_cmp_ne_u32_e64 s4, 0, v19
	s_wait_alu 0xfffe
	v_add_co_ci_u32_e32 v18, vcc_lo, 0, v18, vcc_lo
	v_cmp_gt_i32_e32 vcc_lo, 31, v8
	s_wait_alu 0xf1ff
	v_cndmask_b32_e64 v19, 0, 1, s4
	s_wait_alu 0xfffd
	v_cndmask_b32_e32 v18, 0x7c00, v18, vcc_lo
	v_cmp_eq_u32_e32 vcc_lo, 0x40f, v8
	s_delay_alu instid0(VALU_DEP_3) | instskip(SKIP_1) | instid1(VALU_DEP_3)
	v_lshl_or_b32 v19, v19, 9, 0x7c00
	s_wait_alu 0xfffd
	v_cndmask_b32_e32 v8, v18, v22, vcc_lo
	v_and_b32_e32 v18, 7, v6
	v_lshrrev_b32_e32 v6, 2, v6
	s_delay_alu instid0(VALU_DEP_2) | instskip(SKIP_2) | instid1(VALU_DEP_2)
	v_cmp_lt_i32_e32 vcc_lo, 5, v18
	v_cmp_eq_u32_e64 s3, 3, v18
	v_lshrrev_b32_e32 v18, 16, v32
	s_or_b32 vcc_lo, s3, vcc_lo
	s_delay_alu instid0(VALU_DEP_1) | instskip(SKIP_3) | instid1(VALU_DEP_3)
	v_and_or_b32 v8, 0x8000, v18, v8
	s_wait_alu 0xfffe
	v_add_co_ci_u32_e32 v6, vcc_lo, 0, v6, vcc_lo
	v_cmp_gt_i32_e32 vcc_lo, 31, v21
	v_and_b32_e32 v8, 0xffff, v8
	s_wait_alu 0xfffd
	s_delay_alu instid0(VALU_DEP_3) | instskip(SKIP_3) | instid1(VALU_DEP_3)
	v_cndmask_b32_e32 v6, 0x7c00, v6, vcc_lo
	v_cmp_eq_u32_e32 vcc_lo, 0x40f, v21
	v_lshlrev_b64_e32 v[21:22], 2, v[29:30]
	s_wait_alu 0xfffd
	v_cndmask_b32_e32 v6, v6, v19, vcc_lo
	v_add_co_u32 v18, vcc_lo, v25, s14
	s_wait_alu 0xfffd
	v_add_co_ci_u32_e32 v19, vcc_lo, s15, v26, vcc_lo
	s_delay_alu instid0(VALU_DEP_3) | instskip(SKIP_3) | instid1(VALU_DEP_3)
	v_and_or_b32 v6, 0x8000, v11, v6
	v_add_co_u32 v21, vcc_lo, v20, v21
	s_wait_alu 0xfffd
	v_add_co_ci_u32_e32 v22, vcc_lo, v17, v22, vcc_lo
	v_lshl_or_b32 v6, v6, 16, v8
	global_store_b32 v[25:26], v6, off
	v_mul_f16_e32 v6, v94, v10
	s_delay_alu instid0(VALU_DEP_1) | instskip(NEXT) | instid1(VALU_DEP_1)
	v_fmac_f16_e32 v6, v90, v2
	v_cvt_f32_f16_e32 v2, v6
	s_delay_alu instid0(VALU_DEP_1) | instskip(NEXT) | instid1(VALU_DEP_1)
	v_cvt_f64_f32_e32 v[10:11], v2
	v_mul_f64_e32 v[10:11], s[10:11], v[10:11]
	s_delay_alu instid0(VALU_DEP_1) | instskip(SKIP_1) | instid1(VALU_DEP_2)
	v_and_or_b32 v2, 0x1ff, v11, v10
	v_lshrrev_b32_e32 v6, 8, v11
	v_cmp_ne_u32_e32 vcc_lo, 0, v2
	s_wait_alu 0xfffd
	v_cndmask_b32_e64 v2, 0, 1, vcc_lo
	s_delay_alu instid0(VALU_DEP_1) | instskip(SKIP_1) | instid1(VALU_DEP_2)
	v_and_or_b32 v2, 0xffe, v6, v2
	v_bfe_u32 v6, v11, 20, 11
	v_or_b32_e32 v10, 0x1000, v2
	s_delay_alu instid0(VALU_DEP_2) | instskip(SKIP_2) | instid1(VALU_DEP_3)
	v_sub_nc_u32_e32 v8, 0x3f1, v6
	v_add_nc_u32_e32 v6, 0xfffffc10, v6
	v_cmp_ne_u32_e64 s4, 0, v2
	v_med3_i32 v8, v8, 0, 13
	s_delay_alu instid0(VALU_DEP_1) | instskip(NEXT) | instid1(VALU_DEP_1)
	v_lshrrev_b32_e32 v25, v8, v10
	v_lshlrev_b32_e32 v8, v8, v25
	s_delay_alu instid0(VALU_DEP_1)
	v_cmp_ne_u32_e32 vcc_lo, v8, v10
	v_lshl_or_b32 v10, v6, 12, v2
	v_cndmask_b32_e64 v2, 0, 1, s0
	s_wait_alu 0xfffd
	v_cndmask_b32_e64 v8, 0, 1, vcc_lo
	v_cmp_gt_i32_e32 vcc_lo, 1, v6
	s_delay_alu instid0(VALU_DEP_3) | instskip(NEXT) | instid1(VALU_DEP_3)
	v_or_b32_e32 v2, v24, v2
	v_or_b32_e32 v8, v25, v8
	s_wait_alu 0xfffd
	s_delay_alu instid0(VALU_DEP_1) | instskip(NEXT) | instid1(VALU_DEP_1)
	v_cndmask_b32_e32 v8, v10, v8, vcc_lo
	v_and_b32_e32 v10, 7, v8
	v_lshrrev_b32_e32 v8, 2, v8
	s_delay_alu instid0(VALU_DEP_2) | instskip(SKIP_2) | instid1(VALU_DEP_2)
	v_cmp_lt_i32_e32 vcc_lo, 5, v10
	v_cmp_eq_u32_e64 s3, 3, v10
	v_add_nc_u32_e32 v10, 0xfffffc10, v23
	s_or_b32 vcc_lo, s3, vcc_lo
	s_delay_alu instid0(VALU_DEP_1)
	v_lshl_or_b32 v23, v10, 12, v12
	v_cmp_gt_i32_e64 s0, 1, v10
	s_wait_alu 0xfffe
	v_add_co_ci_u32_e32 v8, vcc_lo, 0, v8, vcc_lo
	v_cmp_gt_i32_e32 vcc_lo, 31, v6
	v_cmp_ne_u32_e64 s3, 0, v12
	s_wait_alu 0xf1ff
	v_cndmask_b32_e64 v2, v23, v2, s0
	v_cndmask_b32_e64 v23, 0, 1, s4
	v_cmp_ne_u32_e64 s4, 0, v14
	s_wait_alu 0xfffd
	v_cndmask_b32_e32 v8, 0x7c00, v8, vcc_lo
	v_cmp_eq_u32_e32 vcc_lo, 0x40f, v6
	v_lshl_or_b32 v23, v23, 9, 0x7c00
	s_wait_alu 0xfffd
	s_delay_alu instid0(VALU_DEP_1) | instskip(SKIP_3) | instid1(VALU_DEP_3)
	v_cndmask_b32_e32 v6, v8, v23, vcc_lo
	v_lshrrev_b32_e32 v8, 16, v11
	v_and_b32_e32 v11, 7, v2
	v_lshrrev_b32_e32 v2, 2, v2
	v_and_or_b32 v6, 0x8000, v8, v6
	s_delay_alu instid0(VALU_DEP_3) | instskip(SKIP_3) | instid1(VALU_DEP_3)
	v_cmp_lt_i32_e32 vcc_lo, 5, v11
	v_cmp_eq_u32_e64 s0, 3, v11
	v_cndmask_b32_e64 v8, 0, 1, s3
	v_lshl_or_b32 v11, v4, 12, v0
	s_or_b32 vcc_lo, s0, vcc_lo
	s_delay_alu instid0(VALU_DEP_2) | instskip(SKIP_4) | instid1(VALU_DEP_2)
	v_lshl_or_b32 v8, v8, 9, 0x7c00
	s_wait_alu 0xfffe
	v_add_co_ci_u32_e32 v2, vcc_lo, 0, v2, vcc_lo
	v_cmp_gt_i32_e32 vcc_lo, 31, v10
	s_wait_alu 0xfffd
	v_cndmask_b32_e32 v2, 0x7c00, v2, vcc_lo
	v_cmp_eq_u32_e32 vcc_lo, 0x40f, v10
	v_lshrrev_b32_e32 v10, 16, v13
	s_wait_alu 0xfffd
	s_delay_alu instid0(VALU_DEP_3) | instskip(SKIP_3) | instid1(VALU_DEP_4)
	v_cndmask_b32_e32 v2, v2, v8, vcc_lo
	v_cndmask_b32_e64 v8, 0, 1, s1
	v_cmp_gt_i32_e32 vcc_lo, 1, v4
	v_cmp_ne_u32_e64 s1, 0, v0
	v_and_or_b32 v2, 0x8000, v10, v2
	s_delay_alu instid0(VALU_DEP_4) | instskip(SKIP_2) | instid1(VALU_DEP_2)
	v_or_b32_e32 v8, v15, v8
	v_cndmask_b32_e64 v10, 0, 1, s2
	s_wait_alu 0xfffd
	v_dual_cndmask_b32 v8, v11, v8 :: v_dual_add_nc_u32 v11, 0xfffffc10, v27
	s_delay_alu instid0(VALU_DEP_2) | instskip(NEXT) | instid1(VALU_DEP_2)
	v_or_b32_e32 v10, v33, v10
	v_lshl_or_b32 v12, v11, 12, v14
	v_cmp_gt_i32_e32 vcc_lo, 1, v11
	s_wait_alu 0xfffd
	s_delay_alu instid0(VALU_DEP_2) | instskip(SKIP_1) | instid1(VALU_DEP_2)
	v_cndmask_b32_e32 v10, v12, v10, vcc_lo
	v_and_b32_e32 v12, 7, v8
	v_and_b32_e32 v0, 7, v10
	s_delay_alu instid0(VALU_DEP_2) | instskip(SKIP_1) | instid1(VALU_DEP_3)
	v_cmp_lt_i32_e32 vcc_lo, 5, v12
	v_cmp_eq_u32_e64 s0, 3, v12
	v_cmp_lt_i32_e64 s2, 5, v0
	v_cmp_eq_u32_e64 s3, 3, v0
	v_lshrrev_b32_e32 v0, 2, v8
	s_delay_alu instid0(VALU_DEP_4) | instskip(SKIP_2) | instid1(VALU_DEP_2)
	s_or_b32 vcc_lo, s0, vcc_lo
	v_cndmask_b32_e64 v8, 0, 1, s1
	s_wait_alu 0xfffe
	v_add_co_ci_u32_e32 v0, vcc_lo, 0, v0, vcc_lo
	v_cmp_gt_i32_e32 vcc_lo, 31, v4
	s_delay_alu instid0(VALU_DEP_3) | instskip(SKIP_1) | instid1(VALU_DEP_3)
	v_lshl_or_b32 v8, v8, 9, 0x7c00
	s_wait_alu 0xfffd
	v_cndmask_b32_e32 v0, 0x7c00, v0, vcc_lo
	v_cmp_eq_u32_e32 vcc_lo, 0x40f, v4
	v_lshrrev_b32_e32 v4, 16, v16
	s_wait_alu 0xfffd
	s_delay_alu instid0(VALU_DEP_3) | instskip(SKIP_3) | instid1(VALU_DEP_3)
	v_cndmask_b32_e32 v0, v0, v8, vcc_lo
	v_lshrrev_b32_e32 v8, 2, v10
	s_or_b32 vcc_lo, s3, s2
	v_cndmask_b32_e64 v10, 0, 1, s4
	v_and_or_b32 v0, 0x8000, v4, v0
	s_wait_alu 0xfffe
	v_add_co_ci_u32_e32 v8, vcc_lo, 0, v8, vcc_lo
	v_cmp_gt_i32_e32 vcc_lo, 31, v11
	v_lshl_or_b32 v10, v10, 9, 0x7c00
	v_and_b32_e32 v4, 0xffff, v6
	v_and_b32_e32 v0, 0xffff, v0
	s_wait_alu 0xfffd
	v_cndmask_b32_e32 v8, 0x7c00, v8, vcc_lo
	v_cmp_eq_u32_e32 vcc_lo, 0x40f, v11
	v_lshl_or_b32 v2, v2, 16, v4
	s_wait_alu 0xfffd
	s_delay_alu instid0(VALU_DEP_3) | instskip(SKIP_1) | instid1(VALU_DEP_1)
	v_cndmask_b32_e32 v8, v8, v10, vcc_lo
	v_lshrrev_b32_e32 v10, 16, v28
	v_and_or_b32 v4, 0x8000, v10, v8
	v_mad_co_u64_u32 v[10:11], null, s12, v74, 0
	s_delay_alu instid0(VALU_DEP_2)
	v_lshl_or_b32 v0, v4, 16, v0
	s_clause 0x1
	global_store_b32 v[18:19], v2, off
	global_store_b32 v[21:22], v0, off
	v_mov_b32_e32 v0, v11
	ds_load_2addr_b32 v[14:15], v87 offset1:160
	v_mad_co_u64_u32 v[18:19], null, 0xa00, s12, v[18:19]
	v_mad_co_u64_u32 v[11:12], null, s13, v74, v[0:1]
	ds_load_2addr_b32 v[12:13], v91 offset0:64 offset1:224
	v_add_nc_u32_e32 v19, s9, v19
	v_lshlrev_b64_e32 v[10:11], 2, v[10:11]
	s_delay_alu instid0(VALU_DEP_1) | instskip(SKIP_1) | instid1(VALU_DEP_2)
	v_add_co_u32 v20, vcc_lo, v20, v10
	s_wait_alu 0xfffd
	v_add_co_ci_u32_e32 v21, vcc_lo, v17, v11, vcc_lo
	ds_load_2addr_b32 v[16:17], v92 offset0:64 offset1:224
	s_wait_dscnt 0x1
	v_lshrrev_b32_e32 v33, 16, v12
	s_wait_dscnt 0x0
	v_lshrrev_b32_e32 v0, 16, v16
	v_mul_f16_e32 v2, v85, v16
	s_delay_alu instid0(VALU_DEP_1) | instskip(SKIP_1) | instid1(VALU_DEP_2)
	v_fma_f16 v2, v84, v0, -v2
	v_mul_f16_e32 v0, v85, v0
	v_cvt_f32_f16_e32 v2, v2
	s_delay_alu instid0(VALU_DEP_2) | instskip(NEXT) | instid1(VALU_DEP_2)
	v_fmac_f16_e32 v0, v84, v16
	v_cvt_f64_f32_e32 v[10:11], v2
	s_delay_alu instid0(VALU_DEP_2) | instskip(NEXT) | instid1(VALU_DEP_2)
	v_cvt_f32_f16_e32 v0, v0
	v_mul_f64_e32 v[22:23], s[10:11], v[10:11]
	s_delay_alu instid0(VALU_DEP_1) | instskip(SKIP_1) | instid1(VALU_DEP_2)
	v_and_or_b32 v2, 0x1ff, v23, v22
	v_lshrrev_b32_e32 v4, 8, v23
	v_cmp_ne_u32_e32 vcc_lo, 0, v2
	s_wait_alu 0xfffd
	v_cndmask_b32_e64 v2, 0, 1, vcc_lo
	s_delay_alu instid0(VALU_DEP_1) | instskip(SKIP_1) | instid1(VALU_DEP_2)
	v_and_or_b32 v2, 0xffe, v4, v2
	v_bfe_u32 v4, v23, 20, 11
	v_or_b32_e32 v8, 0x1000, v2
	s_delay_alu instid0(VALU_DEP_2) | instskip(SKIP_1) | instid1(VALU_DEP_2)
	v_sub_nc_u32_e32 v6, 0x3f1, v4
	v_add_nc_u32_e32 v4, 0xfffffc10, v4
	v_med3_i32 v6, v6, 0, 13
	s_delay_alu instid0(VALU_DEP_1) | instskip(NEXT) | instid1(VALU_DEP_1)
	v_lshrrev_b32_e32 v22, v6, v8
	v_lshlrev_b32_e32 v6, v6, v22
	s_delay_alu instid0(VALU_DEP_1) | instskip(SKIP_2) | instid1(VALU_DEP_1)
	v_cmp_ne_u32_e32 vcc_lo, v6, v8
	v_lshrrev_b32_e32 v6, 16, v14
	v_mul_f16_e32 v8, v82, v14
	v_fma_f16 v8, v81, v6, -v8
	s_delay_alu instid0(VALU_DEP_1) | instskip(NEXT) | instid1(VALU_DEP_1)
	v_cvt_f32_f16_e32 v8, v8
	v_cvt_f64_f32_e32 v[10:11], v8
	s_delay_alu instid0(VALU_DEP_1) | instskip(NEXT) | instid1(VALU_DEP_1)
	v_mul_f64_e32 v[24:25], s[10:11], v[10:11]
	v_and_or_b32 v8, 0x1ff, v25, v24
	v_lshrrev_b32_e32 v10, 8, v25
	v_bfe_u32 v24, v25, 20, 11
	s_delay_alu instid0(VALU_DEP_3) | instskip(SKIP_1) | instid1(VALU_DEP_1)
	v_cmp_ne_u32_e64 s0, 0, v8
	s_wait_alu 0xf1ff
	v_cndmask_b32_e64 v8, 0, 1, s0
	s_delay_alu instid0(VALU_DEP_1) | instskip(SKIP_2) | instid1(VALU_DEP_3)
	v_and_or_b32 v8, 0xffe, v10, v8
	v_sub_nc_u32_e32 v10, 0x3f1, v24
	v_add_nc_u32_e32 v24, 0xfffffc10, v24
	v_or_b32_e32 v11, 0x1000, v8
	s_delay_alu instid0(VALU_DEP_3) | instskip(SKIP_1) | instid1(VALU_DEP_2)
	v_med3_i32 v10, v10, 0, 13
	v_cmp_ne_u32_e64 s7, 0, v8
	v_lshrrev_b32_e32 v32, v10, v11
	s_delay_alu instid0(VALU_DEP_1) | instskip(NEXT) | instid1(VALU_DEP_1)
	v_lshlrev_b32_e32 v10, v10, v32
	v_cmp_ne_u32_e64 s0, v10, v11
	v_mul_f16_e32 v10, v80, v12
	s_delay_alu instid0(VALU_DEP_1) | instskip(NEXT) | instid1(VALU_DEP_1)
	v_fma_f16 v10, v79, v33, -v10
	v_cvt_f32_f16_e32 v10, v10
	s_delay_alu instid0(VALU_DEP_1) | instskip(NEXT) | instid1(VALU_DEP_1)
	v_cvt_f64_f32_e32 v[10:11], v10
	v_mul_f64_e32 v[26:27], s[10:11], v[10:11]
	s_delay_alu instid0(VALU_DEP_1) | instskip(SKIP_2) | instid1(VALU_DEP_3)
	v_and_or_b32 v10, 0x1ff, v27, v26
	v_lshrrev_b32_e32 v11, 8, v27
	v_bfe_u32 v34, v27, 20, 11
	v_cmp_ne_u32_e64 s1, 0, v10
	s_wait_alu 0xf1ff
	s_delay_alu instid0(VALU_DEP_1) | instskip(NEXT) | instid1(VALU_DEP_1)
	v_cndmask_b32_e64 v10, 0, 1, s1
	v_and_or_b32 v26, 0xffe, v11, v10
	v_sub_nc_u32_e32 v10, 0x3f1, v34
	s_delay_alu instid0(VALU_DEP_2) | instskip(NEXT) | instid1(VALU_DEP_2)
	v_or_b32_e32 v11, 0x1000, v26
	v_med3_i32 v10, v10, 0, 13
	s_delay_alu instid0(VALU_DEP_1) | instskip(NEXT) | instid1(VALU_DEP_1)
	v_lshrrev_b32_e32 v35, v10, v11
	v_lshlrev_b32_e32 v10, v10, v35
	s_delay_alu instid0(VALU_DEP_1) | instskip(SKIP_4) | instid1(VALU_DEP_2)
	v_cmp_ne_u32_e64 s1, v10, v11
	ds_load_2addr_b32 v[10:11], v86 offset1:160
	s_wait_dscnt 0x0
	v_lshrrev_b32_e32 v28, 16, v10
	v_mul_f16_e32 v29, v83, v10
	v_mul_f16_e32 v30, v83, v28
	s_delay_alu instid0(VALU_DEP_2) | instskip(NEXT) | instid1(VALU_DEP_2)
	v_fma_f16 v36, v75, v28, -v29
	v_fmac_f16_e32 v30, v75, v10
	s_delay_alu instid0(VALU_DEP_1) | instskip(NEXT) | instid1(VALU_DEP_1)
	v_cvt_f32_f16_e32 v10, v30
	v_cvt_f64_f32_e32 v[28:29], v10
	s_delay_alu instid0(VALU_DEP_1) | instskip(NEXT) | instid1(VALU_DEP_1)
	v_mul_f64_e32 v[28:29], s[10:11], v[28:29]
	v_and_or_b32 v10, 0x1ff, v29, v28
	v_lshrrev_b32_e32 v28, 8, v29
	s_delay_alu instid0(VALU_DEP_2) | instskip(SKIP_1) | instid1(VALU_DEP_1)
	v_cmp_ne_u32_e64 s2, 0, v10
	s_wait_alu 0xf1ff
	v_cndmask_b32_e64 v10, 0, 1, s2
	s_delay_alu instid0(VALU_DEP_1) | instskip(SKIP_1) | instid1(VALU_DEP_2)
	v_and_or_b32 v10, 0xffe, v28, v10
	v_bfe_u32 v28, v29, 20, 11
	v_or_b32_e32 v31, 0x1000, v10
	s_delay_alu instid0(VALU_DEP_2) | instskip(NEXT) | instid1(VALU_DEP_1)
	v_sub_nc_u32_e32 v30, 0x3f1, v28
	v_med3_i32 v30, v30, 0, 13
	s_delay_alu instid0(VALU_DEP_1) | instskip(NEXT) | instid1(VALU_DEP_1)
	v_lshrrev_b32_e32 v37, v30, v31
	v_lshlrev_b32_e32 v30, v30, v37
	s_delay_alu instid0(VALU_DEP_1) | instskip(SKIP_1) | instid1(VALU_DEP_1)
	v_cmp_ne_u32_e64 s2, v30, v31
	v_cvt_f64_f32_e32 v[30:31], v0
	v_mul_f64_e32 v[30:31], s[10:11], v[30:31]
	s_delay_alu instid0(VALU_DEP_1) | instskip(SKIP_1) | instid1(VALU_DEP_2)
	v_and_or_b32 v0, 0x1ff, v31, v30
	v_lshrrev_b32_e32 v16, 8, v31
	v_cmp_ne_u32_e64 s3, 0, v0
	s_wait_alu 0xf1ff
	s_delay_alu instid0(VALU_DEP_1) | instskip(NEXT) | instid1(VALU_DEP_1)
	v_cndmask_b32_e64 v0, 0, 1, s3
	v_and_or_b32 v0, 0xffe, v16, v0
	v_bfe_u32 v16, v31, 20, 11
	s_delay_alu instid0(VALU_DEP_2) | instskip(NEXT) | instid1(VALU_DEP_2)
	v_or_b32_e32 v38, 0x1000, v0
	v_sub_nc_u32_e32 v30, 0x3f1, v16
	v_add_nc_u32_e32 v16, 0xfffffc10, v16
	v_cmp_ne_u32_e64 s5, 0, v0
	s_delay_alu instid0(VALU_DEP_3) | instskip(NEXT) | instid1(VALU_DEP_1)
	v_med3_i32 v30, v30, 0, 13
	v_lshrrev_b32_e32 v39, v30, v38
	s_delay_alu instid0(VALU_DEP_1) | instskip(NEXT) | instid1(VALU_DEP_1)
	v_lshlrev_b32_e32 v30, v30, v39
	v_cmp_ne_u32_e64 s3, v30, v38
	v_lshl_or_b32 v38, v16, 12, v0
	s_wait_alu 0xfffd
	v_cndmask_b32_e64 v0, 0, 1, vcc_lo
	v_cmp_gt_i32_e32 vcc_lo, 1, v4
	s_wait_alu 0xf1ff
	v_cndmask_b32_e64 v30, 0, 1, s3
	v_cmp_gt_i32_e64 s3, 1, v16
	v_or_b32_e32 v0, v22, v0
	v_lshl_or_b32 v22, v4, 12, v2
	s_delay_alu instid0(VALU_DEP_4) | instskip(SKIP_1) | instid1(VALU_DEP_2)
	v_or_b32_e32 v30, v39, v30
	s_wait_alu 0xfffd
	v_cndmask_b32_e32 v0, v22, v0, vcc_lo
	s_wait_alu 0xf1ff
	s_delay_alu instid0(VALU_DEP_2) | instskip(NEXT) | instid1(VALU_DEP_1)
	v_cndmask_b32_e64 v30, v38, v30, s3
	v_and_b32_e32 v38, 7, v30
	v_lshrrev_b32_e32 v22, 2, v30
	v_cndmask_b32_e64 v30, 0, 1, s5
	s_delay_alu instid0(VALU_DEP_3) | instskip(SKIP_1) | instid1(VALU_DEP_3)
	v_cmp_lt_i32_e64 s3, 5, v38
	v_cmp_eq_u32_e64 s4, 3, v38
	v_lshl_or_b32 v30, v30, 9, 0x7c00
	s_delay_alu instid0(VALU_DEP_2)
	s_or_b32 vcc_lo, s4, s3
	v_cmp_ne_u32_e64 s4, 0, v2
	s_wait_alu 0xfffe
	v_add_co_ci_u32_e32 v22, vcc_lo, 0, v22, vcc_lo
	v_cmp_gt_i32_e32 vcc_lo, 31, v16
	s_wait_alu 0xf1ff
	v_cndmask_b32_e64 v2, 0, 1, s4
	s_wait_alu 0xfffd
	v_cndmask_b32_e32 v22, 0x7c00, v22, vcc_lo
	v_cmp_eq_u32_e32 vcc_lo, 0x40f, v16
	s_delay_alu instid0(VALU_DEP_3) | instskip(SKIP_1) | instid1(VALU_DEP_3)
	v_lshl_or_b32 v2, v2, 9, 0x7c00
	s_wait_alu 0xfffd
	v_cndmask_b32_e32 v16, v22, v30, vcc_lo
	v_and_b32_e32 v22, 7, v0
	v_lshrrev_b32_e32 v0, 2, v0
	s_delay_alu instid0(VALU_DEP_2) | instskip(SKIP_2) | instid1(VALU_DEP_2)
	v_cmp_lt_i32_e32 vcc_lo, 5, v22
	v_cmp_eq_u32_e64 s3, 3, v22
	v_lshrrev_b32_e32 v22, 16, v31
	s_or_b32 vcc_lo, s3, vcc_lo
	s_wait_alu 0xfffe
	v_add_co_ci_u32_e32 v0, vcc_lo, 0, v0, vcc_lo
	v_cmp_gt_i32_e32 vcc_lo, 31, v4
	s_wait_alu 0xfffd
	s_delay_alu instid0(VALU_DEP_2) | instskip(SKIP_3) | instid1(VALU_DEP_3)
	v_cndmask_b32_e32 v0, 0x7c00, v0, vcc_lo
	v_cmp_eq_u32_e32 vcc_lo, 0x40f, v4
	v_and_or_b32 v4, 0x8000, v22, v16
	s_wait_alu 0xfffd
	v_cndmask_b32_e32 v0, v0, v2, vcc_lo
	v_lshrrev_b32_e32 v2, 16, v23
	s_delay_alu instid0(VALU_DEP_1) | instskip(SKIP_1) | instid1(VALU_DEP_1)
	v_and_or_b32 v0, 0x8000, v2, v0
	v_and_b32_e32 v2, 0xffff, v4
	v_lshl_or_b32 v0, v0, 16, v2
	global_store_b32 v[18:19], v0, off
	v_cvt_f32_f16_e32 v0, v36
	v_add_co_u32 v18, vcc_lo, v18, s14
	s_wait_alu 0xfffd
	v_add_co_ci_u32_e32 v19, vcc_lo, s15, v19, vcc_lo
	s_delay_alu instid0(VALU_DEP_3) | instskip(NEXT) | instid1(VALU_DEP_1)
	v_cvt_f64_f32_e32 v[22:23], v0
	v_mul_f64_e32 v[22:23], s[10:11], v[22:23]
	s_delay_alu instid0(VALU_DEP_1) | instskip(SKIP_1) | instid1(VALU_DEP_2)
	v_and_or_b32 v0, 0x1ff, v23, v22
	v_lshrrev_b32_e32 v2, 8, v23
	v_cmp_ne_u32_e32 vcc_lo, 0, v0
	s_wait_alu 0xfffd
	v_cndmask_b32_e64 v0, 0, 1, vcc_lo
	s_delay_alu instid0(VALU_DEP_1) | instskip(SKIP_1) | instid1(VALU_DEP_2)
	v_and_or_b32 v0, 0xffe, v2, v0
	v_bfe_u32 v2, v23, 20, 11
	v_or_b32_e32 v16, 0x1000, v0
	s_delay_alu instid0(VALU_DEP_2) | instskip(SKIP_1) | instid1(VALU_DEP_2)
	v_sub_nc_u32_e32 v4, 0x3f1, v2
	v_add_nc_u32_e32 v2, 0xfffffc10, v2
	v_med3_i32 v4, v4, 0, 13
	s_delay_alu instid0(VALU_DEP_1) | instskip(NEXT) | instid1(VALU_DEP_1)
	v_lshrrev_b32_e32 v22, v4, v16
	v_lshlrev_b32_e32 v4, v4, v22
	s_delay_alu instid0(VALU_DEP_1) | instskip(SKIP_1) | instid1(VALU_DEP_1)
	v_cmp_ne_u32_e32 vcc_lo, v4, v16
	v_mul_f16_e32 v4, v82, v6
	v_fmac_f16_e32 v4, v81, v14
	s_delay_alu instid0(VALU_DEP_1) | instskip(NEXT) | instid1(VALU_DEP_1)
	v_cvt_f32_f16_e32 v4, v4
	v_cvt_f64_f32_e32 v[30:31], v4
	s_delay_alu instid0(VALU_DEP_1) | instskip(NEXT) | instid1(VALU_DEP_1)
	v_mul_f64_e32 v[30:31], s[10:11], v[30:31]
	v_and_or_b32 v4, 0x1ff, v31, v30
	v_lshrrev_b32_e32 v6, 8, v31
	s_delay_alu instid0(VALU_DEP_2) | instskip(SKIP_1) | instid1(VALU_DEP_1)
	v_cmp_ne_u32_e64 s3, 0, v4
	s_wait_alu 0xf1ff
	v_cndmask_b32_e64 v4, 0, 1, s3
	s_delay_alu instid0(VALU_DEP_1) | instskip(SKIP_1) | instid1(VALU_DEP_2)
	v_and_or_b32 v4, 0xffe, v6, v4
	v_bfe_u32 v6, v31, 20, 11
	v_or_b32_e32 v16, 0x1000, v4
	s_delay_alu instid0(VALU_DEP_2) | instskip(SKIP_2) | instid1(VALU_DEP_3)
	v_sub_nc_u32_e32 v14, 0x3f1, v6
	v_add_nc_u32_e32 v6, 0xfffffc10, v6
	v_cmp_ne_u32_e64 s4, 0, v4
	v_med3_i32 v14, v14, 0, 13
	s_delay_alu instid0(VALU_DEP_1) | instskip(NEXT) | instid1(VALU_DEP_1)
	v_lshrrev_b32_e32 v30, v14, v16
	v_lshlrev_b32_e32 v14, v14, v30
	s_delay_alu instid0(VALU_DEP_1) | instskip(SKIP_2) | instid1(VALU_DEP_2)
	v_cmp_ne_u32_e64 s3, v14, v16
	v_lshl_or_b32 v16, v6, 12, v4
	s_wait_alu 0xf1ff
	v_cndmask_b32_e64 v14, 0, 1, s3
	v_cmp_gt_i32_e64 s3, 1, v6
	s_delay_alu instid0(VALU_DEP_2) | instskip(SKIP_3) | instid1(VALU_DEP_3)
	v_or_b32_e32 v14, v30, v14
	v_lshl_or_b32 v30, v24, 12, v8
	v_cndmask_b32_e64 v8, 0, 1, s4
	s_wait_alu 0xf1ff
	v_cndmask_b32_e64 v14, v16, v14, s3
	v_cndmask_b32_e64 v16, 0, 1, s0
	v_cmp_gt_i32_e64 s0, 1, v24
	v_lshl_or_b32 v8, v8, 9, 0x7c00
	s_delay_alu instid0(VALU_DEP_3) | instskip(SKIP_1) | instid1(VALU_DEP_1)
	v_or_b32_e32 v16, v32, v16
	s_wait_alu 0xf1ff
	v_cndmask_b32_e64 v16, v30, v16, s0
	v_and_b32_e32 v30, 7, v14
	s_delay_alu instid0(VALU_DEP_2) | instskip(NEXT) | instid1(VALU_DEP_2)
	v_and_b32_e32 v4, 7, v16
	v_cmp_lt_i32_e64 s0, 5, v30
	v_cmp_eq_u32_e64 s3, 3, v30
	s_delay_alu instid0(VALU_DEP_3) | instskip(SKIP_2) | instid1(VALU_DEP_4)
	v_cmp_lt_i32_e64 s5, 5, v4
	v_cmp_eq_u32_e64 s6, 3, v4
	v_lshrrev_b32_e32 v4, 2, v14
	s_or_b32 s0, s3, s0
	v_cndmask_b32_e64 v14, 0, 1, s7
	s_wait_alu 0xfffe
	s_delay_alu instid0(VALU_DEP_2) | instskip(SKIP_1) | instid1(VALU_DEP_3)
	v_add_co_ci_u32_e64 v4, s0, 0, v4, s0
	v_cmp_gt_i32_e64 s0, 31, v6
	v_lshl_or_b32 v14, v14, 9, 0x7c00
	s_wait_alu 0xf1ff
	s_delay_alu instid0(VALU_DEP_2) | instskip(SKIP_3) | instid1(VALU_DEP_2)
	v_cndmask_b32_e64 v4, 0x7c00, v4, s0
	v_cmp_eq_u32_e64 s0, 0x40f, v6
	v_lshrrev_b32_e32 v6, 16, v31
	s_wait_alu 0xf1ff
	v_cndmask_b32_e64 v4, v4, v8, s0
	v_lshrrev_b32_e32 v8, 2, v16
	s_or_b32 s0, s6, s5
	s_delay_alu instid0(VALU_DEP_2) | instskip(SKIP_1) | instid1(VALU_DEP_2)
	v_and_or_b32 v4, 0x8000, v6, v4
	s_wait_alu 0xfffe
	v_add_co_ci_u32_e64 v8, s0, 0, v8, s0
	v_cmp_gt_i32_e64 s0, 31, v24
	s_delay_alu instid0(VALU_DEP_3) | instskip(SKIP_1) | instid1(VALU_DEP_2)
	v_and_b32_e32 v4, 0xffff, v4
	s_wait_alu 0xf1ff
	v_cndmask_b32_e64 v8, 0x7c00, v8, s0
	v_cmp_eq_u32_e64 s0, 0x40f, v24
	s_wait_alu 0xf1ff
	s_delay_alu instid0(VALU_DEP_1) | instskip(SKIP_1) | instid1(VALU_DEP_1)
	v_cndmask_b32_e64 v8, v8, v14, s0
	v_lshrrev_b32_e32 v14, 16, v25
	v_and_or_b32 v6, 0x8000, v14, v8
	s_delay_alu instid0(VALU_DEP_1)
	v_lshl_or_b32 v4, v6, 16, v4
	global_store_b32 v[18:19], v4, off
	v_mul_f16_e32 v4, v80, v33
	v_add_co_u32 v18, s0, v18, s14
	s_wait_alu 0xf1ff
	v_add_co_ci_u32_e64 v19, s0, s15, v19, s0
	s_delay_alu instid0(VALU_DEP_3) | instskip(NEXT) | instid1(VALU_DEP_1)
	v_fmac_f16_e32 v4, v79, v12
	v_cvt_f32_f16_e32 v4, v4
	s_delay_alu instid0(VALU_DEP_1) | instskip(NEXT) | instid1(VALU_DEP_1)
	v_cvt_f64_f32_e32 v[24:25], v4
	v_mul_f64_e32 v[24:25], s[10:11], v[24:25]
	s_delay_alu instid0(VALU_DEP_1) | instskip(SKIP_1) | instid1(VALU_DEP_2)
	v_and_or_b32 v4, 0x1ff, v25, v24
	v_lshrrev_b32_e32 v6, 8, v25
	v_cmp_ne_u32_e64 s0, 0, v4
	s_wait_alu 0xf1ff
	s_delay_alu instid0(VALU_DEP_1) | instskip(NEXT) | instid1(VALU_DEP_1)
	v_cndmask_b32_e64 v4, 0, 1, s0
	v_and_or_b32 v4, 0xffe, v6, v4
	v_bfe_u32 v6, v25, 20, 11
	s_delay_alu instid0(VALU_DEP_2) | instskip(NEXT) | instid1(VALU_DEP_2)
	v_or_b32_e32 v12, 0x1000, v4
	v_sub_nc_u32_e32 v8, 0x3f1, v6
	v_add_nc_u32_e32 v6, 0xfffffc10, v6
	v_cmp_ne_u32_e64 s3, 0, v4
	s_delay_alu instid0(VALU_DEP_3) | instskip(NEXT) | instid1(VALU_DEP_1)
	v_med3_i32 v8, v8, 0, 13
	v_lshrrev_b32_e32 v14, v8, v12
	s_delay_alu instid0(VALU_DEP_1) | instskip(NEXT) | instid1(VALU_DEP_1)
	v_lshlrev_b32_e32 v8, v8, v14
	v_cmp_ne_u32_e64 s0, v8, v12
	v_lshl_or_b32 v12, v6, 12, v4
	s_wait_alu 0xf1ff
	s_delay_alu instid0(VALU_DEP_2) | instskip(SKIP_1) | instid1(VALU_DEP_2)
	v_cndmask_b32_e64 v8, 0, 1, s0
	v_cmp_gt_i32_e64 s0, 1, v6
	v_or_b32_e32 v8, v14, v8
	v_add_nc_u32_e32 v14, 0xfffffc10, v34
	s_wait_alu 0xf1ff
	s_delay_alu instid0(VALU_DEP_2) | instskip(SKIP_1) | instid1(VALU_DEP_3)
	v_cndmask_b32_e64 v8, v12, v8, s0
	v_cndmask_b32_e64 v12, 0, 1, s1
	v_lshl_or_b32 v16, v14, 12, v26
	v_cmp_gt_i32_e64 s0, 1, v14
	s_delay_alu instid0(VALU_DEP_3) | instskip(SKIP_1) | instid1(VALU_DEP_1)
	v_or_b32_e32 v12, v35, v12
	s_wait_alu 0xf1ff
	v_cndmask_b32_e64 v12, v16, v12, s0
	v_and_b32_e32 v16, 7, v8
	s_delay_alu instid0(VALU_DEP_2) | instskip(NEXT) | instid1(VALU_DEP_2)
	v_and_b32_e32 v4, 7, v12
	v_cmp_lt_i32_e64 s0, 5, v16
	v_cmp_eq_u32_e64 s1, 3, v16
	s_delay_alu instid0(VALU_DEP_3) | instskip(SKIP_2) | instid1(VALU_DEP_4)
	v_cmp_lt_i32_e64 s4, 5, v4
	v_cmp_eq_u32_e64 s5, 3, v4
	v_lshrrev_b32_e32 v4, 2, v8
	s_or_b32 s0, s1, s0
	v_cndmask_b32_e64 v8, 0, 1, s3
	s_delay_alu instid0(VALU_DEP_3)
	s_or_b32 s1, s5, s4
	s_wait_alu 0xfffe
	v_add_co_ci_u32_e64 v4, s0, 0, v4, s0
	v_cmp_gt_i32_e64 s0, 31, v6
	v_lshl_or_b32 v8, v8, 9, 0x7c00
	s_wait_alu 0xf1ff
	s_delay_alu instid0(VALU_DEP_2) | instskip(SKIP_3) | instid1(VALU_DEP_2)
	v_cndmask_b32_e64 v4, 0x7c00, v4, s0
	v_cmp_eq_u32_e64 s0, 0x40f, v6
	v_lshrrev_b32_e32 v6, 16, v25
	s_wait_alu 0xf1ff
	v_cndmask_b32_e64 v4, v4, v8, s0
	v_cmp_ne_u32_e64 s0, 0, v26
	v_cndmask_b32_e64 v8, 0, 1, s2
	s_delay_alu instid0(VALU_DEP_3)
	v_and_or_b32 v4, 0x8000, v6, v4
	v_lshrrev_b32_e32 v6, 2, v12
	s_wait_alu 0xf1ff
	v_cndmask_b32_e64 v12, 0, 1, s0
	v_cmp_eq_u32_e64 s0, 0x40f, v14
	v_or_b32_e32 v8, v37, v8
	v_and_b32_e32 v4, 0xffff, v4
	v_add_co_ci_u32_e64 v6, s1, 0, v6, s1
	v_cmp_gt_i32_e64 s1, 31, v14
	v_lshl_or_b32 v12, v12, 9, 0x7c00
	v_add_nc_u32_e32 v14, 0xfffffc10, v28
	s_wait_alu 0xf1ff
	s_delay_alu instid0(VALU_DEP_3) | instskip(SKIP_1) | instid1(VALU_DEP_3)
	v_cndmask_b32_e64 v6, 0x7c00, v6, s1
	v_cmp_ne_u32_e64 s1, 0, v10
	v_lshl_or_b32 v16, v14, 12, v10
	s_delay_alu instid0(VALU_DEP_3) | instskip(SKIP_2) | instid1(VALU_DEP_2)
	v_cndmask_b32_e64 v6, v6, v12, s0
	v_lshrrev_b32_e32 v12, 16, v27
	v_cmp_gt_i32_e64 s0, 1, v14
	v_and_or_b32 v6, 0x8000, v12, v6
	s_wait_alu 0xfffd
	v_cndmask_b32_e64 v12, 0, 1, vcc_lo
	s_wait_alu 0xf1ff
	v_cndmask_b32_e64 v8, v16, v8, s0
	v_lshl_or_b32 v16, v2, 12, v0
	v_cmp_gt_i32_e32 vcc_lo, 1, v2
	v_lshl_or_b32 v4, v6, 16, v4
	v_or_b32_e32 v12, v22, v12
	v_mul_f16_e32 v6, v77, v5
	s_wait_alu 0xfffd
	s_delay_alu instid0(VALU_DEP_2) | instskip(SKIP_2) | instid1(VALU_DEP_3)
	v_cndmask_b32_e32 v12, v16, v12, vcc_lo
	v_and_b32_e32 v16, 7, v8
	v_lshrrev_b32_e32 v8, 2, v8
	v_and_b32_e32 v10, 7, v12
	s_delay_alu instid0(VALU_DEP_3) | instskip(SKIP_1) | instid1(VALU_DEP_3)
	v_cmp_lt_i32_e32 vcc_lo, 5, v16
	v_cmp_eq_u32_e64 s0, 3, v16
	v_cmp_lt_i32_e64 s2, 5, v10
	v_cmp_eq_u32_e64 s3, 3, v10
	s_delay_alu instid0(VALU_DEP_3)
	s_or_b32 vcc_lo, s0, vcc_lo
	v_cndmask_b32_e64 v10, 0, 1, s1
	s_wait_alu 0xfffe
	v_add_co_ci_u32_e32 v8, vcc_lo, 0, v8, vcc_lo
	v_cmp_gt_i32_e32 vcc_lo, 31, v14
	s_or_b32 s0, s3, s2
	v_lshl_or_b32 v10, v10, 9, 0x7c00
	s_wait_alu 0xfffd
	v_cndmask_b32_e32 v8, 0x7c00, v8, vcc_lo
	v_cmp_eq_u32_e32 vcc_lo, 0x40f, v14
	s_wait_alu 0xfffd
	s_delay_alu instid0(VALU_DEP_2) | instskip(SKIP_4) | instid1(VALU_DEP_3)
	v_cndmask_b32_e32 v8, v8, v10, vcc_lo
	v_lshrrev_b32_e32 v10, 2, v12
	v_cmp_ne_u32_e32 vcc_lo, 0, v0
	v_lshrrev_b32_e32 v0, 16, v29
	s_wait_alu 0xfffe
	v_add_co_ci_u32_e64 v10, s0, 0, v10, s0
	v_cmp_gt_i32_e64 s0, 31, v2
	s_wait_alu 0xfffd
	v_cndmask_b32_e64 v12, 0, 1, vcc_lo
	v_cmp_eq_u32_e32 vcc_lo, 0x40f, v2
	v_and_or_b32 v0, 0x8000, v0, v8
	s_wait_alu 0xf1ff
	v_cndmask_b32_e64 v10, 0x7c00, v10, s0
	v_lshl_or_b32 v12, v12, 9, 0x7c00
	s_delay_alu instid0(VALU_DEP_3) | instskip(SKIP_1) | instid1(VALU_DEP_2)
	v_and_b32_e32 v0, 0xffff, v0
	s_wait_alu 0xfffd
	v_cndmask_b32_e32 v2, v10, v12, vcc_lo
	v_lshrrev_b32_e32 v10, 16, v23
	s_delay_alu instid0(VALU_DEP_1) | instskip(NEXT) | instid1(VALU_DEP_1)
	v_and_or_b32 v2, 0x8000, v10, v2
	v_lshl_or_b32 v0, v2, 16, v0
	global_store_b32 v[18:19], v4, off
	global_store_b32 v[20:21], v0, off
	v_lshrrev_b32_e32 v0, 16, v5
	s_delay_alu instid0(VALU_DEP_1) | instskip(SKIP_1) | instid1(VALU_DEP_2)
	v_mul_f16_e32 v2, v77, v0
	v_fma_f16 v0, v70, v0, -v6
	v_fmac_f16_e32 v2, v70, v5
	ds_load_2addr_b32 v[4:5], v88 offset0:64 offset1:224
	v_cvt_f32_f16_e32 v0, v0
	v_cvt_f32_f16_e32 v2, v2
	s_wait_dscnt 0x0
	v_lshrrev_b32_e32 v24, 16, v4
	v_mul_f16_e32 v6, v68, v4
	s_delay_alu instid0(VALU_DEP_1) | instskip(NEXT) | instid1(VALU_DEP_1)
	v_fma_f16 v6, v67, v24, -v6
	v_cvt_f32_f16_e32 v6, v6
	s_delay_alu instid0(VALU_DEP_1) | instskip(NEXT) | instid1(VALU_DEP_1)
	v_cvt_f64_f32_e32 v[20:21], v6
	v_mul_f64_e32 v[21:22], s[10:11], v[20:21]
	s_delay_alu instid0(VALU_DEP_1) | instskip(SKIP_3) | instid1(VALU_DEP_4)
	v_and_or_b32 v6, 0x1ff, v22, v21
	v_lshrrev_b32_e32 v8, 8, v22
	v_bfe_u32 v16, v22, 20, 11
	v_cvt_f64_f32_e32 v[20:21], v0
	v_cmp_ne_u32_e32 vcc_lo, 0, v6
	s_wait_alu 0xfffd
	v_cndmask_b32_e64 v6, 0, 1, vcc_lo
	s_delay_alu instid0(VALU_DEP_1) | instskip(SKIP_2) | instid1(VALU_DEP_3)
	v_and_or_b32 v6, 0xffe, v8, v6
	v_sub_nc_u32_e32 v8, 0x3f1, v16
	v_add_nc_u32_e32 v16, 0xfffffc10, v16
	v_or_b32_e32 v10, 0x1000, v6
	s_delay_alu instid0(VALU_DEP_3) | instskip(NEXT) | instid1(VALU_DEP_1)
	v_med3_i32 v8, v8, 0, 13
	v_lshrrev_b32_e32 v23, v8, v10
	s_delay_alu instid0(VALU_DEP_1) | instskip(NEXT) | instid1(VALU_DEP_1)
	v_lshlrev_b32_e32 v8, v8, v23
	v_cmp_ne_u32_e64 s1, v8, v10
	v_lshrrev_b32_e32 v8, 16, v9
	v_mul_f16_e32 v10, v78, v9
	v_mul_f64_e32 v[20:21], s[10:11], v[20:21]
	s_delay_alu instid0(VALU_DEP_3) | instskip(NEXT) | instid1(VALU_DEP_3)
	v_mul_f16_e32 v25, v78, v8
	v_fma_f16 v27, v76, v8, -v10
	s_delay_alu instid0(VALU_DEP_2) | instskip(SKIP_1) | instid1(VALU_DEP_3)
	v_fmac_f16_e32 v25, v76, v9
	v_cvt_f64_f32_e32 v[8:9], v2
	v_cvt_f32_f16_e32 v27, v27
	v_and_or_b32 v0, 0x1ff, v21, v20
	s_delay_alu instid0(VALU_DEP_1) | instskip(NEXT) | instid1(VALU_DEP_4)
	v_cmp_ne_u32_e64 s0, 0, v0
	v_mul_f64_e32 v[8:9], s[10:11], v[8:9]
	s_wait_alu 0xf1ff
	s_delay_alu instid0(VALU_DEP_2) | instskip(NEXT) | instid1(VALU_DEP_2)
	v_cndmask_b32_e64 v0, 0, 1, s0
	v_and_or_b32 v2, 0x1ff, v9, v8
	v_lshrrev_b32_e32 v8, 8, v9
	s_delay_alu instid0(VALU_DEP_2) | instskip(SKIP_2) | instid1(VALU_DEP_1)
	v_cmp_ne_u32_e32 vcc_lo, 0, v2
	s_wait_alu 0xfffd
	v_cndmask_b32_e64 v2, 0, 1, vcc_lo
	v_and_or_b32 v2, 0xffe, v8, v2
	v_bfe_u32 v8, v9, 20, 11
	s_delay_alu instid0(VALU_DEP_2) | instskip(NEXT) | instid1(VALU_DEP_2)
	v_or_b32_e32 v14, 0x1000, v2
	v_sub_nc_u32_e32 v10, 0x3f1, v8
	s_delay_alu instid0(VALU_DEP_1) | instskip(NEXT) | instid1(VALU_DEP_1)
	v_med3_i32 v10, v10, 0, 13
	v_lshrrev_b32_e32 v12, v10, v14
	s_delay_alu instid0(VALU_DEP_1) | instskip(NEXT) | instid1(VALU_DEP_1)
	v_lshlrev_b32_e32 v10, v10, v12
	v_cmp_ne_u32_e32 vcc_lo, v10, v14
	v_lshrrev_b32_e32 v10, 8, v21
	s_delay_alu instid0(VALU_DEP_1) | instskip(SKIP_1) | instid1(VALU_DEP_2)
	v_and_or_b32 v0, 0xffe, v10, v0
	v_bfe_u32 v10, v21, 20, 11
	v_or_b32_e32 v26, 0x1000, v0
	s_delay_alu instid0(VALU_DEP_2) | instskip(NEXT) | instid1(VALU_DEP_1)
	v_sub_nc_u32_e32 v14, 0x3f1, v10
	v_med3_i32 v20, v14, 0, 13
	s_delay_alu instid0(VALU_DEP_1) | instskip(NEXT) | instid1(VALU_DEP_1)
	v_lshrrev_b32_e32 v14, v20, v26
	v_lshlrev_b32_e32 v20, v20, v14
	s_delay_alu instid0(VALU_DEP_1) | instskip(SKIP_2) | instid1(VALU_DEP_2)
	v_cmp_ne_u32_e64 s0, v20, v26
	v_lshrrev_b32_e32 v20, 16, v7
	v_mul_f16_e32 v26, v73, v7
	v_mul_f16_e32 v29, v73, v20
	s_delay_alu instid0(VALU_DEP_1) | instskip(NEXT) | instid1(VALU_DEP_3)
	v_fmac_f16_e32 v29, v72, v7
	v_fma_f16 v7, v72, v20, -v26
	v_cvt_f32_f16_e32 v20, v25
	s_delay_alu instid0(VALU_DEP_1) | instskip(NEXT) | instid1(VALU_DEP_1)
	v_cvt_f64_f32_e32 v[25:26], v20
	v_mul_f64_e32 v[25:26], s[10:11], v[25:26]
	s_delay_alu instid0(VALU_DEP_1) | instskip(SKIP_1) | instid1(VALU_DEP_2)
	v_and_or_b32 v20, 0x1ff, v26, v25
	v_lshrrev_b32_e32 v25, 8, v26
	v_cmp_ne_u32_e64 s2, 0, v20
	s_wait_alu 0xf1ff
	s_delay_alu instid0(VALU_DEP_1) | instskip(NEXT) | instid1(VALU_DEP_1)
	v_cndmask_b32_e64 v20, 0, 1, s2
	v_and_or_b32 v20, 0xffe, v25, v20
	v_bfe_u32 v25, v26, 20, 11
	s_delay_alu instid0(VALU_DEP_2) | instskip(NEXT) | instid1(VALU_DEP_2)
	v_or_b32_e32 v30, 0x1000, v20
	v_sub_nc_u32_e32 v28, 0x3f1, v25
	s_delay_alu instid0(VALU_DEP_1) | instskip(NEXT) | instid1(VALU_DEP_1)
	v_med3_i32 v28, v28, 0, 13
	v_lshrrev_b32_e32 v33, v28, v30
	s_delay_alu instid0(VALU_DEP_1) | instskip(NEXT) | instid1(VALU_DEP_1)
	v_lshlrev_b32_e32 v28, v28, v33
	v_cmp_ne_u32_e64 s2, v28, v30
	v_cvt_f64_f32_e32 v[27:28], v27
	s_delay_alu instid0(VALU_DEP_1) | instskip(NEXT) | instid1(VALU_DEP_1)
	v_mul_f64_e32 v[27:28], s[10:11], v[27:28]
	v_and_or_b32 v27, 0x1ff, v28, v27
	v_lshrrev_b32_e32 v30, 8, v28
	v_bfe_u32 v34, v28, 20, 11
	s_delay_alu instid0(VALU_DEP_3) | instskip(SKIP_1) | instid1(VALU_DEP_1)
	v_cmp_ne_u32_e64 s3, 0, v27
	s_wait_alu 0xf1ff
	v_cndmask_b32_e64 v27, 0, 1, s3
	s_delay_alu instid0(VALU_DEP_1) | instskip(SKIP_1) | instid1(VALU_DEP_2)
	v_and_or_b32 v27, 0xffe, v30, v27
	v_sub_nc_u32_e32 v30, 0x3f1, v34
	v_or_b32_e32 v31, 0x1000, v27
	s_delay_alu instid0(VALU_DEP_2) | instskip(NEXT) | instid1(VALU_DEP_1)
	v_med3_i32 v30, v30, 0, 13
	v_lshrrev_b32_e32 v35, v30, v31
	s_delay_alu instid0(VALU_DEP_1) | instskip(NEXT) | instid1(VALU_DEP_1)
	v_lshlrev_b32_e32 v30, v30, v35
	v_cmp_ne_u32_e64 s3, v30, v31
	v_lshrrev_b32_e32 v30, 16, v3
	v_mul_f16_e32 v31, v71, v3
	s_delay_alu instid0(VALU_DEP_2) | instskip(NEXT) | instid1(VALU_DEP_2)
	v_mul_f16_e32 v36, v71, v30
	v_fma_f16 v37, v69, v30, -v31
	s_delay_alu instid0(VALU_DEP_2) | instskip(SKIP_1) | instid1(VALU_DEP_1)
	v_fmac_f16_e32 v36, v69, v3
	v_cvt_f32_f16_e32 v3, v29
	v_cvt_f64_f32_e32 v[29:30], v3
	s_delay_alu instid0(VALU_DEP_1) | instskip(NEXT) | instid1(VALU_DEP_1)
	v_mul_f64_e32 v[29:30], s[10:11], v[29:30]
	v_and_or_b32 v3, 0x1ff, v30, v29
	v_lshrrev_b32_e32 v29, 8, v30
	v_bfe_u32 v38, v30, 20, 11
	s_delay_alu instid0(VALU_DEP_3) | instskip(SKIP_1) | instid1(VALU_DEP_1)
	v_cmp_ne_u32_e64 s4, 0, v3
	s_wait_alu 0xf1ff
	v_cndmask_b32_e64 v3, 0, 1, s4
	s_delay_alu instid0(VALU_DEP_1) | instskip(SKIP_1) | instid1(VALU_DEP_2)
	v_and_or_b32 v29, 0xffe, v29, v3
	v_sub_nc_u32_e32 v3, 0x3f1, v38
	v_or_b32_e32 v31, 0x1000, v29
	s_delay_alu instid0(VALU_DEP_2) | instskip(NEXT) | instid1(VALU_DEP_1)
	v_med3_i32 v3, v3, 0, 13
	v_lshrrev_b32_e32 v39, v3, v31
	s_delay_alu instid0(VALU_DEP_1) | instskip(NEXT) | instid1(VALU_DEP_1)
	v_lshlrev_b32_e32 v3, v3, v39
	v_cmp_ne_u32_e64 s4, v3, v31
	v_cvt_f32_f16_e32 v3, v7
	s_delay_alu instid0(VALU_DEP_1) | instskip(NEXT) | instid1(VALU_DEP_1)
	v_cvt_f64_f32_e32 v[31:32], v3
	v_mul_f64_e32 v[31:32], s[10:11], v[31:32]
	s_delay_alu instid0(VALU_DEP_1) | instskip(SKIP_2) | instid1(VALU_DEP_3)
	v_and_or_b32 v3, 0x1ff, v32, v31
	v_lshrrev_b32_e32 v7, 8, v32
	v_bfe_u32 v40, v32, 20, 11
	v_cmp_ne_u32_e64 s5, 0, v3
	s_wait_alu 0xf1ff
	s_delay_alu instid0(VALU_DEP_1) | instskip(NEXT) | instid1(VALU_DEP_1)
	v_cndmask_b32_e64 v3, 0, 1, s5
	v_and_or_b32 v31, 0xffe, v7, v3
	v_sub_nc_u32_e32 v3, 0x3f1, v40
	s_delay_alu instid0(VALU_DEP_2) | instskip(NEXT) | instid1(VALU_DEP_2)
	v_or_b32_e32 v7, 0x1000, v31
	v_med3_i32 v3, v3, 0, 13
	s_delay_alu instid0(VALU_DEP_1) | instskip(NEXT) | instid1(VALU_DEP_1)
	v_lshrrev_b32_e32 v41, v3, v7
	v_lshlrev_b32_e32 v3, v3, v41
	s_delay_alu instid0(VALU_DEP_1) | instskip(SKIP_1) | instid1(VALU_DEP_1)
	v_cmp_ne_u32_e64 s5, v3, v7
	v_mul_f16_e32 v3, v68, v24
	v_fmac_f16_e32 v3, v67, v4
	s_delay_alu instid0(VALU_DEP_1) | instskip(NEXT) | instid1(VALU_DEP_1)
	v_cvt_f32_f16_e32 v3, v3
	v_cvt_f64_f32_e32 v[3:4], v3
	s_delay_alu instid0(VALU_DEP_1) | instskip(NEXT) | instid1(VALU_DEP_1)
	v_mul_f64_e32 v[3:4], s[10:11], v[3:4]
	v_and_or_b32 v3, 0x1ff, v4, v3
	v_lshrrev_b32_e32 v7, 8, v4
	s_delay_alu instid0(VALU_DEP_2) | instskip(SKIP_1) | instid1(VALU_DEP_1)
	v_cmp_ne_u32_e64 s6, 0, v3
	s_wait_alu 0xf1ff
	v_cndmask_b32_e64 v3, 0, 1, s6
	s_delay_alu instid0(VALU_DEP_1) | instskip(SKIP_2) | instid1(VALU_DEP_3)
	v_and_or_b32 v3, 0xffe, v7, v3
	v_bfe_u32 v7, v4, 20, 11
	v_lshrrev_b32_e32 v4, 16, v4
	v_or_b32_e32 v42, 0x1000, v3
	s_delay_alu instid0(VALU_DEP_3) | instskip(SKIP_2) | instid1(VALU_DEP_3)
	v_sub_nc_u32_e32 v24, 0x3f1, v7
	v_add_nc_u32_e32 v7, 0xfffffc10, v7
	v_cmp_ne_u32_e64 s8, 0, v3
	v_med3_i32 v24, v24, 0, 13
	s_delay_alu instid0(VALU_DEP_1) | instskip(NEXT) | instid1(VALU_DEP_1)
	v_lshrrev_b32_e32 v43, v24, v42
	v_lshlrev_b32_e32 v24, v24, v43
	s_delay_alu instid0(VALU_DEP_1)
	v_cmp_ne_u32_e64 s6, v24, v42
	v_lshl_or_b32 v42, v7, 12, v3
	v_cndmask_b32_e64 v3, 0, 1, s1
	v_cmp_gt_i32_e64 s1, 1, v16
	s_wait_alu 0xf1ff
	v_cndmask_b32_e64 v24, 0, 1, s6
	v_cmp_gt_i32_e64 s6, 1, v7
	v_or_b32_e32 v3, v23, v3
	v_lshl_or_b32 v23, v16, 12, v6
	s_delay_alu instid0(VALU_DEP_4) | instskip(NEXT) | instid1(VALU_DEP_2)
	v_or_b32_e32 v24, v43, v24
	v_cndmask_b32_e64 v3, v23, v3, s1
	s_wait_alu 0xf1ff
	s_delay_alu instid0(VALU_DEP_2) | instskip(NEXT) | instid1(VALU_DEP_1)
	v_cndmask_b32_e64 v24, v42, v24, s6
	v_and_b32_e32 v42, 7, v24
	v_lshrrev_b32_e32 v23, 2, v24
	v_cndmask_b32_e64 v24, 0, 1, s8
	s_delay_alu instid0(VALU_DEP_3) | instskip(SKIP_1) | instid1(VALU_DEP_3)
	v_cmp_lt_i32_e64 s6, 5, v42
	v_cmp_eq_u32_e64 s7, 3, v42
	v_lshl_or_b32 v24, v24, 9, 0x7c00
	s_delay_alu instid0(VALU_DEP_2)
	s_or_b32 s1, s7, s6
	v_cmp_ne_u32_e64 s7, 0, v6
	s_wait_alu 0xfffe
	v_add_co_ci_u32_e64 v23, s1, 0, v23, s1
	v_cmp_gt_i32_e64 s1, 31, v7
	s_wait_alu 0xf1ff
	v_cndmask_b32_e64 v6, 0, 1, s7
	s_delay_alu instid0(VALU_DEP_2) | instskip(SKIP_1) | instid1(VALU_DEP_3)
	v_cndmask_b32_e64 v23, 0x7c00, v23, s1
	v_cmp_eq_u32_e64 s1, 0x40f, v7
	v_lshl_or_b32 v6, v6, 9, 0x7c00
	s_wait_alu 0xf1ff
	s_delay_alu instid0(VALU_DEP_2) | instskip(SKIP_2) | instid1(VALU_DEP_3)
	v_cndmask_b32_e64 v7, v23, v24, s1
	v_and_b32_e32 v23, 7, v3
	v_lshrrev_b32_e32 v3, 2, v3
	v_and_or_b32 v4, 0x8000, v4, v7
	s_delay_alu instid0(VALU_DEP_3) | instskip(SKIP_1) | instid1(VALU_DEP_3)
	v_cmp_lt_i32_e64 s1, 5, v23
	v_cmp_eq_u32_e64 s6, 3, v23
	v_and_b32_e32 v4, 0xffff, v4
	s_delay_alu instid0(VALU_DEP_2) | instskip(SKIP_4) | instid1(VALU_DEP_1)
	s_or_b32 s1, s6, s1
	s_wait_alu 0xfffe
	v_add_co_ci_u32_e64 v3, s1, 0, v3, s1
	v_cmp_gt_i32_e64 s1, 31, v16
	s_wait_alu 0xf1ff
	v_cndmask_b32_e64 v3, 0x7c00, v3, s1
	v_cmp_eq_u32_e64 s1, 0x40f, v16
	s_wait_alu 0xfffd
	v_cndmask_b32_e64 v16, 0, 1, vcc_lo
	s_wait_alu 0xf1ff
	s_delay_alu instid0(VALU_DEP_2) | instskip(SKIP_1) | instid1(VALU_DEP_3)
	v_cndmask_b32_e64 v3, v3, v6, s1
	v_lshrrev_b32_e32 v6, 16, v22
	v_or_b32_e32 v12, v12, v16
	s_delay_alu instid0(VALU_DEP_2) | instskip(SKIP_1) | instid1(VALU_DEP_2)
	v_and_or_b32 v3, 0x8000, v6, v3
	v_add_nc_u32_e32 v6, 0xfffffc10, v8
	v_lshl_or_b32 v4, v3, 16, v4
	s_delay_alu instid0(VALU_DEP_2) | instskip(SKIP_2) | instid1(VALU_DEP_2)
	v_lshl_or_b32 v7, v6, 12, v2
	v_cmp_gt_i32_e32 vcc_lo, 1, v6
	s_wait_alu 0xfffd
	v_cndmask_b32_e32 v7, v7, v12, vcc_lo
	s_delay_alu instid0(VALU_DEP_1) | instskip(SKIP_1) | instid1(VALU_DEP_2)
	v_and_b32_e32 v3, 7, v7
	v_lshrrev_b32_e32 v7, 2, v7
	v_cmp_lt_i32_e32 vcc_lo, 5, v3
	v_cmp_eq_u32_e64 s1, 3, v3
	v_cndmask_b32_e64 v3, 0, 1, s0
	v_cmp_ne_u32_e64 s0, 0, v2
	v_add_nc_u32_e32 v2, 0xfffffc10, v10
	v_add_nc_u32_e32 v10, 0xfffffc10, v25
	s_or_b32 vcc_lo, s1, vcc_lo
	v_or_b32_e32 v3, v14, v3
	s_wait_alu 0xfffe
	v_add_co_ci_u32_e32 v7, vcc_lo, 0, v7, vcc_lo
	v_lshl_or_b32 v8, v2, 12, v0
	v_cmp_gt_i32_e64 s6, 1, v2
	v_cmp_gt_i32_e32 vcc_lo, 31, v6
	v_cmp_ne_u32_e64 s1, 0, v0
	v_cndmask_b32_e64 v0, 0, 1, s2
	v_add_nc_u32_e32 v14, 0xfffffc10, v38
	s_wait_alu 0xf1ff
	v_cndmask_b32_e64 v3, v8, v3, s6
	v_cndmask_b32_e64 v8, 0, 1, s0
	s_wait_alu 0xfffd
	v_cndmask_b32_e32 v7, 0x7c00, v7, vcc_lo
	v_cmp_eq_u32_e32 vcc_lo, 0x40f, v6
	v_or_b32_e32 v0, v33, v0
	v_lshl_or_b32 v8, v8, 9, 0x7c00
	s_wait_alu 0xfffd
	s_delay_alu instid0(VALU_DEP_1) | instskip(SKIP_3) | instid1(VALU_DEP_4)
	v_dual_cndmask_b32 v6, v7, v8 :: v_dual_and_b32 v7, 7, v3
	v_lshrrev_b32_e32 v3, 2, v3
	v_cndmask_b32_e64 v8, 0, 1, s1
	v_cmp_ne_u32_e64 s1, 0, v20
	v_cmp_lt_i32_e32 vcc_lo, 5, v7
	v_cmp_eq_u32_e64 s0, 3, v7
	s_delay_alu instid0(VALU_DEP_4)
	v_lshl_or_b32 v8, v8, 9, 0x7c00
	v_lshrrev_b32_e32 v7, 16, v9
	v_lshrrev_b32_e32 v9, 16, v21
	v_lshrrev_b32_e32 v21, 16, v1
	s_or_b32 vcc_lo, s0, vcc_lo
	s_wait_alu 0xfffe
	v_add_co_ci_u32_e32 v3, vcc_lo, 0, v3, vcc_lo
	v_cmp_gt_i32_e32 vcc_lo, 31, v2
	v_and_or_b32 v12, 0x8000, v7, v6
	v_cndmask_b32_e64 v6, 0, 1, s3
	v_add_nc_u32_e32 v7, 0xfffffc10, v34
	s_wait_alu 0xfffd
	v_cndmask_b32_e32 v3, 0x7c00, v3, vcc_lo
	v_cmp_eq_u32_e32 vcc_lo, 0x40f, v2
	v_lshl_or_b32 v2, v10, 12, v20
	v_or_b32_e32 v6, v35, v6
	v_and_b32_e32 v12, 0xffff, v12
	v_add_nc_u32_e32 v20, 0xfffffc10, v40
	s_wait_alu 0xfffd
	v_cndmask_b32_e32 v8, v3, v8, vcc_lo
	v_cmp_gt_i32_e32 vcc_lo, 1, v10
	s_wait_alu 0xfffd
	v_cndmask_b32_e32 v0, v2, v0, vcc_lo
	v_mad_co_u64_u32 v[2:3], null, 0xa00, s12, v[18:19]
	v_cmp_gt_i32_e32 vcc_lo, 1, v7
	s_delay_alu instid0(VALU_DEP_2) | instskip(SKIP_4) | instid1(VALU_DEP_3)
	v_add_nc_u32_e32 v3, s9, v3
	global_store_b32 v[2:3], v4, off
	v_and_or_b32 v4, 0x8000, v9, v8
	v_lshl_or_b32 v8, v7, 12, v27
	v_mad_co_u64_u32 v[2:3], null, 0xffffd580, s12, v[2:3]
	v_lshl_or_b32 v4, v4, 16, v12
	s_wait_alu 0xfffd
	s_delay_alu instid0(VALU_DEP_3) | instskip(SKIP_2) | instid1(VALU_DEP_2)
	v_cndmask_b32_e32 v6, v8, v6, vcc_lo
	v_and_b32_e32 v8, 7, v0
	v_lshrrev_b32_e32 v0, 2, v0
	v_cmp_lt_i32_e32 vcc_lo, 5, v8
	v_cmp_eq_u32_e64 s0, 3, v8
	v_and_b32_e32 v8, 7, v6
	v_lshrrev_b32_e32 v6, 2, v6
	s_delay_alu instid0(VALU_DEP_3) | instskip(NEXT) | instid1(VALU_DEP_2)
	s_or_b32 vcc_lo, s0, vcc_lo
	v_cmp_lt_i32_e64 s2, 5, v8
	s_wait_alu 0xfffe
	v_add_co_ci_u32_e32 v0, vcc_lo, 0, v0, vcc_lo
	v_cmp_eq_u32_e64 s3, 3, v8
	v_cmp_gt_i32_e32 vcc_lo, 31, v10
	v_cndmask_b32_e64 v8, 0, 1, s1
	v_cmp_gt_i32_e64 s1, 1, v20
	s_delay_alu instid0(VALU_DEP_4)
	s_or_b32 s0, s3, s2
	s_wait_alu 0xfffd
	v_cndmask_b32_e32 v0, 0x7c00, v0, vcc_lo
	v_lshl_or_b32 v8, v8, 9, 0x7c00
	v_cmp_eq_u32_e32 vcc_lo, 0x40f, v10
	s_wait_alu 0xfffe
	v_add_co_ci_u32_e64 v6, s0, 0, v6, s0
	v_cmp_gt_i32_e64 s0, 31, v7
	v_lshrrev_b32_e32 v10, 16, v28
	s_wait_alu 0xfffd
	v_cndmask_b32_e32 v0, v0, v8, vcc_lo
	v_cmp_ne_u32_e32 vcc_lo, 0, v27
	v_lshrrev_b32_e32 v8, 16, v26
	s_wait_alu 0xf1ff
	v_cndmask_b32_e64 v6, 0x7c00, v6, s0
	s_wait_alu 0xfffd
	v_cndmask_b32_e64 v9, 0, 1, vcc_lo
	v_cmp_eq_u32_e32 vcc_lo, 0x40f, v7
	v_and_or_b32 v0, 0x8000, v8, v0
	v_lshl_or_b32 v7, v14, 12, v29
	v_cvt_f32_f16_e32 v8, v36
	v_lshl_or_b32 v9, v9, 9, 0x7c00
	s_wait_alu 0xfffd
	s_delay_alu instid0(VALU_DEP_1) | instskip(SKIP_2) | instid1(VALU_DEP_3)
	v_dual_cndmask_b32 v9, v6, v9 :: v_dual_and_b32 v0, 0xffff, v0
	v_cndmask_b32_e64 v6, 0, 1, s4
	v_cmp_gt_i32_e32 vcc_lo, 1, v14
	v_and_or_b32 v10, 0x8000, v10, v9
	s_delay_alu instid0(VALU_DEP_3) | instskip(NEXT) | instid1(VALU_DEP_2)
	v_or_b32_e32 v6, v39, v6
	v_lshl_or_b32 v10, v10, 16, v0
	s_wait_alu 0xfffd
	s_delay_alu instid0(VALU_DEP_2) | instskip(SKIP_3) | instid1(VALU_DEP_4)
	v_cndmask_b32_e32 v16, v7, v6, vcc_lo
	v_cvt_f64_f32_e32 v[6:7], v8
	v_cvt_f32_f16_e32 v8, v37
	v_cndmask_b32_e64 v0, 0, 1, s5
	v_and_b32_e32 v12, 7, v16
	v_lshrrev_b32_e32 v16, 2, v16
	s_delay_alu instid0(VALU_DEP_4) | instskip(NEXT) | instid1(VALU_DEP_4)
	v_cvt_f64_f32_e32 v[8:9], v8
	v_or_b32_e32 v0, v41, v0
	s_delay_alu instid0(VALU_DEP_4) | instskip(SKIP_2) | instid1(VALU_DEP_2)
	v_cmp_lt_i32_e32 vcc_lo, 5, v12
	v_cmp_eq_u32_e64 s0, 3, v12
	v_lshl_or_b32 v12, v20, 12, v31
	s_or_b32 vcc_lo, s0, vcc_lo
	s_delay_alu instid0(VALU_DEP_1)
	v_cndmask_b32_e64 v0, v12, v0, s1
	v_mul_f16_e32 v12, v66, v21
	s_wait_alu 0xfffe
	v_add_co_ci_u32_e32 v16, vcc_lo, 0, v16, vcc_lo
	v_cmp_ne_u32_e32 vcc_lo, 0, v29
	s_mul_i32 s0, s13, 0xffffd580
	v_fmac_f16_e32 v12, v62, v1
	s_wait_alu 0xfffe
	s_sub_co_i32 s0, s0, s12
	v_mul_f16_e32 v1, v66, v1
	s_wait_alu 0xfffd
	v_cndmask_b32_e64 v18, 0, 1, vcc_lo
	v_cmp_gt_i32_e32 vcc_lo, 31, v14
	v_cvt_f32_f16_e32 v12, v12
	s_wait_alu 0xfffe
	v_add_nc_u32_e32 v3, s0, v3
	v_fma_f16 v1, v62, v21, -v1
	v_lshl_or_b32 v22, v18, 9, 0x7c00
	s_wait_alu 0xfffd
	v_cndmask_b32_e32 v16, 0x7c00, v16, vcc_lo
	v_cvt_f64_f32_e32 v[18:19], v12
	v_cmp_eq_u32_e32 vcc_lo, 0x40f, v14
	v_cvt_f32_f16_e32 v1, v1
	v_lshrrev_b32_e32 v14, 16, v30
	v_mul_f64_e32 v[6:7], s[10:11], v[6:7]
	s_wait_alu 0xfffd
	v_cndmask_b32_e32 v12, v16, v22, vcc_lo
	v_and_b32_e32 v16, 7, v0
	v_lshrrev_b32_e32 v0, 2, v0
	v_mul_f64_e32 v[8:9], s[10:11], v[8:9]
	s_delay_alu instid0(VALU_DEP_3) | instskip(SKIP_1) | instid1(VALU_DEP_1)
	v_cmp_eq_u32_e64 s0, 3, v16
	v_and_or_b32 v12, 0x8000, v14, v12
	v_and_b32_e32 v12, 0xffff, v12
	v_mul_f64_e32 v[18:19], s[10:11], v[18:19]
	v_and_or_b32 v6, 0x1ff, v7, v6
	v_lshrrev_b32_e32 v22, 8, v7
	v_bfe_u32 v23, v7, 20, 11
	v_lshrrev_b32_e32 v7, 16, v7
	s_delay_alu instid0(VALU_DEP_4) | instskip(SKIP_4) | instid1(VALU_DEP_2)
	v_cmp_ne_u32_e32 vcc_lo, 0, v6
	v_and_or_b32 v8, 0x1ff, v9, v8
	s_wait_alu 0xfffd
	v_cndmask_b32_e64 v6, 0, 1, vcc_lo
	v_cmp_lt_i32_e32 vcc_lo, 5, v16
	v_and_or_b32 v6, 0xffe, v22, v6
	s_or_b32 vcc_lo, s0, vcc_lo
	v_sub_nc_u32_e32 v22, 0x3f1, v23
	s_wait_alu 0xfffe
	v_add_co_ci_u32_e32 v0, vcc_lo, 0, v0, vcc_lo
	v_cmp_ne_u32_e32 vcc_lo, 0, v31
	v_or_b32_e32 v14, 0x1000, v6
	v_med3_i32 v16, v22, 0, 13
	v_add_nc_u32_e32 v23, 0xfffffc10, v23
	s_wait_alu 0xfffd
	v_cndmask_b32_e64 v22, 0, 1, vcc_lo
	v_cmp_gt_i32_e32 vcc_lo, 31, v20
	v_lshrrev_b32_e32 v21, v16, v14
	v_lshl_or_b32 v25, v23, 12, v6
	s_delay_alu instid0(VALU_DEP_4)
	v_lshl_or_b32 v22, v22, 9, 0x7c00
	s_wait_alu 0xfffd
	v_cndmask_b32_e32 v24, 0x7c00, v0, vcc_lo
	v_cvt_f64_f32_e32 v[0:1], v1
	v_cmp_ne_u32_e32 vcc_lo, 0, v8
	v_lshlrev_b32_e32 v16, v16, v21
	v_and_or_b32 v18, 0x1ff, v19, v18
	s_wait_alu 0xfffd
	v_cndmask_b32_e64 v8, 0, 1, vcc_lo
	v_cmp_eq_u32_e32 vcc_lo, 0x40f, v20
	v_lshrrev_b32_e32 v20, 8, v9
	v_cmp_ne_u32_e64 s1, 0, v18
	s_wait_alu 0xfffd
	v_cndmask_b32_e32 v22, v24, v22, vcc_lo
	v_cmp_ne_u32_e32 vcc_lo, v16, v14
	v_bfe_u32 v24, v9, 20, 11
	v_and_or_b32 v8, 0xffe, v20, v8
	v_lshrrev_b32_e32 v20, 16, v32
	s_wait_alu 0xf1ff
	v_cndmask_b32_e64 v18, 0, 1, s1
	s_wait_alu 0xfffd
	v_cndmask_b32_e64 v14, 0, 1, vcc_lo
	v_sub_nc_u32_e32 v16, 0x3f1, v24
	v_or_b32_e32 v26, 0x1000, v8
	v_and_or_b32 v22, 0x8000, v20, v22
	v_add_co_u32 v20, vcc_lo, v2, s14
	v_or_b32_e32 v14, v21, v14
	s_wait_alu 0xfffd
	v_add_co_ci_u32_e32 v21, vcc_lo, s15, v3, vcc_lo
	v_med3_i32 v16, v16, 0, 13
	v_cmp_gt_i32_e32 vcc_lo, 1, v23
	global_store_b32 v[2:3], v4, off
	global_store_b32 v[20:21], v10, off
	v_lshl_or_b32 v4, v22, 16, v12
	v_add_nc_u32_e32 v22, 0xfffffc10, v24
	v_lshrrev_b32_e32 v9, 16, v9
	s_wait_alu 0xfffd
	v_cndmask_b32_e32 v14, v25, v14, vcc_lo
	v_lshrrev_b32_e32 v25, v16, v26
	v_add_co_u32 v2, vcc_lo, v20, s14
	s_wait_alu 0xfffd
	v_add_co_ci_u32_e32 v3, vcc_lo, s15, v21, vcc_lo
	s_delay_alu instid0(VALU_DEP_3)
	v_lshlrev_b32_e32 v10, v16, v25
	v_lshrrev_b32_e32 v16, 16, v17
	v_mul_f64_e32 v[0:1], s[10:11], v[0:1]
	v_and_b32_e32 v12, 7, v14
	v_lshl_or_b32 v24, v22, 12, v8
	v_cmp_ne_u32_e64 s0, v10, v26
	v_mul_f16_e32 v20, v65, v16
	v_cmp_gt_i32_e64 s1, 1, v22
	v_cmp_lt_i32_e32 vcc_lo, 5, v12
	v_bfe_u32 v26, v19, 20, 11
	s_wait_alu 0xf1ff
	v_cndmask_b32_e64 v10, 0, 1, s0
	v_fmac_f16_e32 v20, v64, v17
	v_cmp_eq_u32_e64 s0, 3, v12
	v_lshrrev_b32_e32 v12, 2, v14
	v_mul_f16_e32 v17, v65, v17
	v_or_b32_e32 v10, v25, v10
	v_cvt_f32_f16_e32 v14, v20
	s_or_b32 vcc_lo, s0, vcc_lo
	v_lshrrev_b32_e32 v25, 8, v19
	s_wait_alu 0xfffe
	v_add_co_ci_u32_e32 v12, vcc_lo, 0, v12, vcc_lo
	v_cvt_f64_f32_e32 v[20:21], v14
	v_cndmask_b32_e64 v10, v24, v10, s1
	v_cmp_ne_u32_e32 vcc_lo, 0, v6
	v_and_or_b32 v14, 0xffe, v25, v18
	v_sub_nc_u32_e32 v18, 0x3f1, v26
	v_fma_f16 v16, v64, v16, -v17
	v_and_b32_e32 v24, 7, v10
	s_wait_alu 0xfffd
	v_cndmask_b32_e64 v6, 0, 1, vcc_lo
	v_cmp_gt_i32_e32 vcc_lo, 31, v23
	v_lshrrev_b32_e32 v10, 2, v10
	v_or_b32_e32 v25, 0x1000, v14
	v_cmp_eq_u32_e64 s0, 3, v24
	v_med3_i32 v18, v18, 0, 13
	s_wait_alu 0xfffd
	v_cndmask_b32_e32 v12, 0x7c00, v12, vcc_lo
	v_cmp_lt_i32_e32 vcc_lo, 5, v24
	v_cvt_f32_f16_e32 v16, v16
	v_lshl_or_b32 v6, v6, 9, 0x7c00
	v_lshrrev_b32_e32 v24, v18, v25
	v_add_nc_u32_e32 v26, 0xfffffc10, v26
	s_or_b32 vcc_lo, s0, vcc_lo
	v_and_or_b32 v0, 0x1ff, v1, v0
	s_wait_alu 0xfffe
	v_add_co_ci_u32_e32 v10, vcc_lo, 0, v10, vcc_lo
	v_cmp_gt_i32_e32 vcc_lo, 31, v22
	v_lshlrev_b32_e32 v18, v18, v24
	v_cvt_f64_f32_e32 v[16:17], v16
	v_lshrrev_b32_e32 v27, 8, v1
	global_store_b32 v[2:3], v4, off
	s_wait_alu 0xfffd
	v_cndmask_b32_e32 v10, 0x7c00, v10, vcc_lo
	v_cmp_ne_u32_e32 vcc_lo, 0, v0
	v_lshrrev_b32_e32 v19, 16, v19
	s_wait_alu 0xfffd
	v_cndmask_b32_e64 v0, 0, 1, vcc_lo
	v_cmp_ne_u32_e32 vcc_lo, v18, v25
	v_bfe_u32 v18, v1, 20, 11
	v_lshrrev_b32_e32 v1, 16, v1
	v_mul_f64_e32 v[20:21], s[10:11], v[20:21]
	v_and_or_b32 v0, 0xffe, v27, v0
	s_wait_alu 0xfffd
	v_cndmask_b32_e64 v25, 0, 1, vcc_lo
	v_cmp_ne_u32_e32 vcc_lo, 0, v8
	v_sub_nc_u32_e32 v27, 0x3f1, v18
	v_add_nc_u32_e32 v18, 0xfffffc10, v18
	s_delay_alu instid0(VALU_DEP_4)
	v_or_b32_e32 v24, v24, v25
	s_wait_alu 0xfffd
	v_cndmask_b32_e64 v8, 0, 1, vcc_lo
	v_cmp_eq_u32_e32 vcc_lo, 0x40f, v23
	v_lshl_or_b32 v23, v26, 12, v14
	v_or_b32_e32 v25, 0x1000, v0
	v_med3_i32 v27, v27, 0, 13
	v_lshl_or_b32 v8, v8, 9, 0x7c00
	s_wait_alu 0xfffd
	v_cndmask_b32_e32 v6, v12, v6, vcc_lo
	v_cmp_gt_i32_e32 vcc_lo, 1, v26
	v_lshrrev_b32_e32 v12, v27, v25
	s_delay_alu instid0(VALU_DEP_3)
	v_and_or_b32 v6, 0x8000, v7, v6
	s_wait_alu 0xfffd
	v_cndmask_b32_e32 v23, v23, v24, vcc_lo
	v_cmp_eq_u32_e32 vcc_lo, 0x40f, v22
	v_lshlrev_b32_e32 v22, v27, v12
	s_wait_alu 0xfffd
	v_cndmask_b32_e32 v8, v10, v8, vcc_lo
	v_and_b32_e32 v10, 7, v23
	s_delay_alu instid0(VALU_DEP_3) | instskip(NEXT) | instid1(VALU_DEP_3)
	v_cmp_ne_u32_e64 s1, v22, v25
	v_and_or_b32 v4, 0x8000, v9, v8
	s_delay_alu instid0(VALU_DEP_3)
	v_cmp_lt_i32_e32 vcc_lo, 5, v10
	v_cmp_eq_u32_e64 s0, 3, v10
	v_lshrrev_b32_e32 v8, 2, v23
	s_wait_alu 0xf1ff
	v_cndmask_b32_e64 v9, 0, 1, s1
	v_and_b32_e32 v10, 0xffff, v6
	v_mul_f64_e32 v[6:7], s[10:11], v[16:17]
	s_or_b32 vcc_lo, s0, vcc_lo
	v_lshl_or_b32 v16, v18, 12, v0
	s_wait_alu 0xfffe
	v_add_co_ci_u32_e32 v8, vcc_lo, 0, v8, vcc_lo
	v_cmp_ne_u32_e32 vcc_lo, 0, v14
	v_or_b32_e32 v9, v12, v9
	v_lshrrev_b32_e32 v12, 16, v15
	v_and_or_b32 v17, 0x1ff, v21, v20
	v_cmp_eq_u32_e64 s1, 0x40f, v26
	s_wait_alu 0xfffd
	v_cndmask_b32_e64 v14, 0, 1, vcc_lo
	v_cmp_gt_i32_e32 vcc_lo, 1, v18
	v_mul_f16_e32 v20, v63, v12
	v_bfe_u32 v23, v21, 20, 11
	v_lshl_or_b32 v4, v4, 16, v10
	v_lshl_or_b32 v14, v14, 9, 0x7c00
	s_wait_alu 0xfffd
	v_cndmask_b32_e32 v16, v16, v9, vcc_lo
	v_cmp_gt_i32_e32 vcc_lo, 31, v26
	v_fmac_f16_e32 v20, v61, v15
	v_mul_f16_e32 v15, v63, v15
	s_wait_alu 0xfffd
	v_cndmask_b32_e32 v22, 0x7c00, v8, vcc_lo
	v_cmp_ne_u32_e32 vcc_lo, 0, v17
	v_and_b32_e32 v8, 7, v16
	v_lshrrev_b32_e32 v17, 8, v21
	v_cvt_f32_f16_e32 v20, v20
	s_wait_alu 0xf1ff
	v_cndmask_b32_e64 v22, v22, v14, s1
	s_wait_alu 0xfffd
	v_cndmask_b32_e64 v9, 0, 1, vcc_lo
	v_cmp_lt_i32_e32 vcc_lo, 5, v8
	v_cmp_eq_u32_e64 s0, 3, v8
	v_lshrrev_b32_e32 v14, 2, v16
	v_fma_f16 v12, v61, v12, -v15
	v_and_or_b32 v17, 0xffe, v17, v9
	v_cvt_f64_f32_e32 v[8:9], v20
	v_sub_nc_u32_e32 v20, 0x3f1, v23
	s_or_b32 vcc_lo, s0, vcc_lo
	v_cvt_f32_f16_e32 v12, v12
	s_wait_alu 0xfffe
	v_add_co_ci_u32_e32 v14, vcc_lo, 0, v14, vcc_lo
	v_or_b32_e32 v16, 0x1000, v17
	v_med3_i32 v20, v20, 0, 13
	v_cmp_ne_u32_e32 vcc_lo, 0, v0
	v_and_or_b32 v6, 0x1ff, v7, v6
	v_lshrrev_b32_e32 v26, 8, v7
	v_bfe_u32 v27, v7, 20, 11
	v_lshrrev_b32_e32 v24, v20, v16
	s_wait_alu 0xfffd
	v_cndmask_b32_e64 v0, 0, 1, vcc_lo
	v_cmp_gt_i32_e32 vcc_lo, 31, v18
	v_and_or_b32 v19, 0x8000, v19, v22
	v_add_nc_u32_e32 v22, 0xfffffc10, v27
	v_lshlrev_b32_e32 v20, v20, v24
	v_lshl_or_b32 v0, v0, 9, 0x7c00
	s_wait_alu 0xfffd
	v_cndmask_b32_e32 v25, 0x7c00, v14, vcc_lo
	v_cmp_ne_u32_e32 vcc_lo, 0, v6
	v_cvt_f64_f32_e32 v[14:15], v12
	v_lshrrev_b32_e32 v21, 16, v21
	v_lshrrev_b32_e32 v7, 16, v7
	s_wait_alu 0xfffd
	v_cndmask_b32_e64 v6, 0, 1, vcc_lo
	v_cmp_ne_u32_e32 vcc_lo, v20, v16
	v_add_nc_u32_e32 v20, 0xfffffc10, v23
	v_sub_nc_u32_e32 v16, 0x3f1, v27
	s_delay_alu instid0(VALU_DEP_4)
	v_and_or_b32 v6, 0xffe, v26, v6
	s_wait_alu 0xfffd
	v_cndmask_b32_e64 v12, 0, 1, vcc_lo
	v_cmp_eq_u32_e32 vcc_lo, 0x40f, v18
	v_lshl_or_b32 v18, v20, 12, v17
	v_med3_i32 v16, v16, 0, 13
	v_or_b32_e32 v23, 0x1000, v6
	v_or_b32_e32 v12, v24, v12
	s_wait_alu 0xfffd
	v_cndmask_b32_e32 v0, v25, v0, vcc_lo
	v_mul_f64_e32 v[8:9], s[10:11], v[8:9]
	v_cmp_gt_i32_e32 vcc_lo, 1, v20
	s_delay_alu instid0(VALU_DEP_3)
	v_and_or_b32 v0, 0x8000, v1, v0
	s_wait_alu 0xfffd
	v_dual_cndmask_b32 v12, v18, v12 :: v_dual_and_b32 v1, 0xffff, v19
	v_lshrrev_b32_e32 v18, v16, v23
	v_lshrrev_b32_e32 v19, 16, v13
	v_add_co_u32 v2, vcc_lo, v2, s14
	s_delay_alu instid0(VALU_DEP_4)
	v_and_b32_e32 v10, 7, v12
	s_wait_alu 0xfffd
	v_add_co_ci_u32_e32 v3, vcc_lo, s15, v3, vcc_lo
	v_lshlrev_b32_e32 v16, v16, v18
	v_lshrrev_b32_e32 v12, 2, v12
	v_cmp_lt_i32_e32 vcc_lo, 5, v10
	v_cmp_eq_u32_e64 s0, 3, v10
	v_mul_f16_e32 v10, v60, v19
	v_cmp_ne_u32_e64 s1, v16, v23
	v_lshl_or_b32 v23, v22, 12, v6
	v_mul_f64_e32 v[14:15], s[10:11], v[14:15]
	s_or_b32 vcc_lo, s0, vcc_lo
	v_fmac_f16_e32 v10, v59, v13
	v_cndmask_b32_e64 v16, 0, 1, s1
	s_wait_alu 0xfffe
	v_add_co_ci_u32_e32 v12, vcc_lo, 0, v12, vcc_lo
	v_cmp_ne_u32_e32 vcc_lo, 0, v17
	v_cvt_f32_f16_e32 v10, v10
	v_or_b32_e32 v18, v18, v16
	v_lshl_or_b32 v24, v0, 16, v1
	v_cmp_eq_u32_e64 s1, 0x40f, v20
	s_wait_alu 0xfffd
	v_cndmask_b32_e64 v0, 0, 1, vcc_lo
	v_cvt_f64_f32_e32 v[16:17], v10
	v_cmp_gt_i32_e32 vcc_lo, 1, v22
	v_mul_f16_e32 v13, v60, v13
	v_and_or_b32 v8, 0x1ff, v9, v8
	s_wait_alu 0xfffd
	v_cndmask_b32_e32 v10, v23, v18, vcc_lo
	v_cmp_gt_i32_e32 vcc_lo, 31, v20
	v_lshl_or_b32 v18, v0, 9, 0x7c00
	v_lshrrev_b32_e32 v25, 8, v9
	v_cmp_ne_u32_e64 s0, 0, v8
	s_wait_alu 0xfffd
	v_dual_cndmask_b32 v12, 0x7c00, v12 :: v_dual_and_b32 v23, 7, v10
	v_bfe_u32 v26, v9, 20, 11
	v_add_co_u32 v0, vcc_lo, v2, s14
	s_wait_alu 0xf1ff
	v_cndmask_b32_e64 v8, 0, 1, s0
	s_wait_alu 0xfffd
	v_add_co_ci_u32_e32 v1, vcc_lo, s15, v3, vcc_lo
	v_cmp_lt_i32_e32 vcc_lo, 5, v23
	v_cmp_eq_u32_e64 s0, 3, v23
	v_cndmask_b32_e64 v18, v12, v18, s1
	v_and_or_b32 v8, 0xffe, v25, v8
	v_sub_nc_u32_e32 v12, 0x3f1, v26
	v_lshrrev_b32_e32 v10, 2, v10
	s_or_b32 vcc_lo, s0, vcc_lo
	v_and_or_b32 v14, 0x1ff, v15, v14
	v_or_b32_e32 v20, 0x1000, v8
	v_med3_i32 v12, v12, 0, 13
	s_wait_alu 0xfffe
	v_add_co_ci_u32_e32 v10, vcc_lo, 0, v10, vcc_lo
	v_cmp_ne_u32_e32 vcc_lo, 0, v6
	v_fma_f16 v19, v59, v19, -v13
	v_lshrrev_b32_e32 v23, v12, v20
	v_bfe_u32 v27, v15, 20, 11
	v_and_or_b32 v18, 0x8000, v21, v18
	s_wait_alu 0xfffd
	v_cndmask_b32_e64 v6, 0, 1, vcc_lo
	v_cmp_gt_i32_e32 vcc_lo, 31, v22
	v_lshlrev_b32_e32 v25, v12, v23
	v_mul_f64_e32 v[12:13], s[10:11], v[16:17]
	v_cvt_f32_f16_e32 v16, v19
	v_lshl_or_b32 v6, v6, 9, 0x7c00
	s_wait_alu 0xfffd
	v_cndmask_b32_e32 v10, 0x7c00, v10, vcc_lo
	v_cmp_ne_u32_e32 vcc_lo, 0, v14
	v_lshrrev_b32_e32 v19, 8, v15
	v_cvt_f64_f32_e32 v[16:17], v16
	global_store_b32 v[2:3], v4, off
	global_store_b32 v[0:1], v24, off
	v_lshrrev_b32_e32 v9, 16, v9
	s_wait_alu 0xfffd
	v_cndmask_b32_e64 v14, 0, 1, vcc_lo
	v_cmp_eq_u32_e32 vcc_lo, 0x40f, v22
	v_lshrrev_b32_e32 v15, 16, v15
	s_wait_alu 0xfffd
	v_cndmask_b32_e32 v6, v10, v6, vcc_lo
	v_and_or_b32 v10, 0xffe, v19, v14
	v_sub_nc_u32_e32 v14, 0x3f1, v27
	v_cmp_ne_u32_e32 vcc_lo, v25, v20
	v_add_nc_u32_e32 v20, 0xfffffc10, v26
	v_lshrrev_b32_e32 v25, 16, v11
	v_or_b32_e32 v22, 0x1000, v10
	v_med3_i32 v14, v14, 0, 13
	s_wait_alu 0xfffd
	v_cndmask_b32_e64 v19, 0, 1, vcc_lo
	v_cmp_gt_i32_e32 vcc_lo, 1, v20
	v_mul_f16_e32 v21, v58, v25
	v_and_or_b32 v6, 0x8000, v7, v6
	v_lshrrev_b32_e32 v26, v14, v22
	v_or_b32_e32 v19, v23, v19
	v_lshl_or_b32 v23, v20, 12, v8
	v_fmac_f16_e32 v21, v55, v11
	v_mul_f16_e32 v11, v58, v11
	v_lshlrev_b32_e32 v7, v14, v26
	s_wait_alu 0xfffd
	v_dual_cndmask_b32 v19, v23, v19 :: v_dual_and_b32 v14, 0xffff, v18
	v_cvt_f32_f16_e32 v3, v21
	v_fma_f16 v11, v55, v25, -v11
	v_cmp_ne_u32_e64 s0, v7, v22
	s_delay_alu instid0(VALU_DEP_4)
	v_lshl_or_b32 v2, v6, 16, v14
	v_and_b32_e32 v18, 7, v19
	v_cvt_f64_f32_e32 v[3:4], v3
	v_and_or_b32 v12, 0x1ff, v13, v12
	s_wait_alu 0xf1ff
	v_cndmask_b32_e64 v6, 0, 1, s0
	v_add_nc_u32_e32 v14, 0xfffffc10, v27
	v_cmp_lt_i32_e32 vcc_lo, 5, v18
	v_cmp_eq_u32_e64 s0, 3, v18
	v_lshrrev_b32_e32 v18, 2, v19
	v_cmp_ne_u32_e64 s1, 0, v12
	v_or_b32_e32 v19, v26, v6
	v_lshl_or_b32 v21, v14, 12, v10
	s_or_b32 vcc_lo, s0, vcc_lo
	v_mul_f64_e32 v[6:7], s[10:11], v[16:17]
	s_wait_alu 0xfffe
	v_add_co_ci_u32_e32 v18, vcc_lo, 0, v18, vcc_lo
	v_cmp_gt_i32_e32 vcc_lo, 1, v14
	v_cndmask_b32_e64 v12, 0, 1, s1
	v_lshrrev_b32_e32 v16, 8, v13
	v_bfe_u32 v17, v13, 20, 11
	v_cmp_eq_u32_e64 s1, 0x40f, v20
	s_wait_alu 0xfffd
	v_cndmask_b32_e32 v19, v21, v19, vcc_lo
	v_cmp_ne_u32_e32 vcc_lo, 0, v8
	v_and_or_b32 v12, 0xffe, v16, v12
	v_sub_nc_u32_e32 v16, 0x3f1, v17
	v_add_nc_u32_e32 v17, 0xfffffc10, v17
	v_and_b32_e32 v21, 7, v19
	s_wait_alu 0xfffd
	v_cndmask_b32_e64 v8, 0, 1, vcc_lo
	v_cmp_gt_i32_e32 vcc_lo, 31, v20
	v_or_b32_e32 v22, 0x1000, v12
	v_med3_i32 v16, v16, 0, 13
	v_cmp_eq_u32_e64 s0, 3, v21
	v_lshl_or_b32 v8, v8, 9, 0x7c00
	s_wait_alu 0xfffd
	v_cndmask_b32_e32 v18, 0x7c00, v18, vcc_lo
	v_cmp_lt_i32_e32 vcc_lo, 5, v21
	v_lshrrev_b32_e32 v19, 2, v19
	v_lshrrev_b32_e32 v23, v16, v22
	;; [unrolled: 1-line block ×3, first 2 shown]
	s_wait_alu 0xf1ff
	v_cndmask_b32_e64 v8, v18, v8, s1
	s_or_b32 vcc_lo, s0, vcc_lo
	v_mul_f64_e32 v[3:4], s[10:11], v[3:4]
	s_wait_alu 0xfffe
	v_add_co_ci_u32_e32 v18, vcc_lo, 0, v19, vcc_lo
	v_lshlrev_b32_e32 v16, v16, v23
	v_cmp_ne_u32_e32 vcc_lo, 0, v10
	v_lshl_or_b32 v19, v17, 12, v12
	v_and_or_b32 v20, 0x8000, v9, v8
	v_cvt_f32_f16_e32 v8, v11
	s_wait_alu 0xfffd
	v_cndmask_b32_e64 v10, 0, 1, vcc_lo
	v_cmp_ne_u32_e32 vcc_lo, v16, v22
	v_and_or_b32 v6, 0x1ff, v7, v6
	v_cvt_f64_f32_e32 v[8:9], v8
	v_and_b32_e32 v20, 0xffff, v20
	v_lshl_or_b32 v10, v10, 9, 0x7c00
	s_wait_alu 0xfffd
	v_cndmask_b32_e64 v16, 0, 1, vcc_lo
	v_cmp_gt_i32_e32 vcc_lo, 31, v14
	s_delay_alu instid0(VALU_DEP_2)
	v_or_b32_e32 v16, v23, v16
	s_wait_alu 0xfffd
	v_cndmask_b32_e32 v18, 0x7c00, v18, vcc_lo
	v_cmp_gt_i32_e32 vcc_lo, 1, v17
	s_wait_alu 0xfffd
	v_cndmask_b32_e32 v11, v19, v16, vcc_lo
	v_cmp_ne_u32_e32 vcc_lo, 0, v6
	v_lshrrev_b32_e32 v16, 8, v7
	v_bfe_u32 v19, v7, 20, 11
	v_lshrrev_b32_e32 v7, 16, v7
	s_wait_alu 0xfffd
	v_cndmask_b32_e64 v6, 0, 1, vcc_lo
	v_cmp_eq_u32_e32 vcc_lo, 0x40f, v14
	v_and_b32_e32 v14, 7, v11
	s_delay_alu instid0(VALU_DEP_3)
	v_and_or_b32 v16, 0xffe, v16, v6
	s_wait_alu 0xfffd
	v_cndmask_b32_e32 v10, v18, v10, vcc_lo
	v_mul_f16_e32 v18, v57, v21
	v_sub_nc_u32_e32 v6, 0x3f1, v19
	v_cmp_lt_i32_e32 vcc_lo, 5, v14
	v_cmp_eq_u32_e64 s0, 3, v14
	v_and_or_b32 v14, 0x8000, v15, v10
	v_fmac_f16_e32 v18, v56, v5
	v_lshrrev_b32_e32 v10, 2, v11
	v_or_b32_e32 v22, 0x1000, v16
	v_med3_i32 v6, v6, 0, 13
	s_or_b32 vcc_lo, s0, vcc_lo
	v_cvt_f32_f16_e32 v11, v18
	s_wait_alu 0xfffe
	v_add_co_ci_u32_e32 v18, vcc_lo, 0, v10, vcc_lo
	v_lshrrev_b32_e32 v15, v6, v22
	v_and_or_b32 v3, 0x1ff, v4, v3
	v_cvt_f64_f32_e32 v[10:11], v11
	v_cmp_ne_u32_e32 vcc_lo, 0, v12
	v_mul_f16_e32 v5, v57, v5
	v_lshlrev_b32_e32 v6, v6, v15
	v_lshrrev_b32_e32 v23, 8, v4
	v_add_nc_u32_e32 v19, 0xfffffc10, v19
	s_wait_alu 0xfffd
	v_cndmask_b32_e64 v12, 0, 1, vcc_lo
	v_cmp_ne_u32_e32 vcc_lo, 0, v3
	v_fma_f16 v5, v56, v21, -v5
	v_lshl_or_b32 v14, v14, 16, v20
	s_delay_alu instid0(VALU_DEP_4)
	v_lshl_or_b32 v12, v12, 9, 0x7c00
	s_wait_alu 0xfffd
	v_cndmask_b32_e64 v3, 0, 1, vcc_lo
	v_cmp_ne_u32_e32 vcc_lo, v6, v22
	v_bfe_u32 v22, v4, 20, 11
	v_lshrrev_b32_e32 v4, 16, v4
	s_delay_alu instid0(VALU_DEP_4)
	v_and_or_b32 v3, 0xffe, v23, v3
	s_wait_alu 0xfffd
	v_cndmask_b32_e64 v21, 0, 1, vcc_lo
	v_cvt_f32_f16_e32 v23, v5
	v_sub_nc_u32_e32 v24, 0x3f1, v22
	v_cmp_gt_i32_e32 vcc_lo, 31, v17
	v_mul_f64_e32 v[5:6], s[10:11], v[8:9]
	v_or_b32_e32 v15, v15, v21
	v_lshl_or_b32 v21, v19, 12, v16
	v_cvt_f64_f32_e32 v[8:9], v23
	v_or_b32_e32 v23, 0x1000, v3
	v_med3_i32 v24, v24, 0, 13
	s_wait_alu 0xfffd
	v_cndmask_b32_e32 v18, 0x7c00, v18, vcc_lo
	v_cmp_gt_i32_e32 vcc_lo, 1, v19
	s_delay_alu instid0(VALU_DEP_3)
	v_lshrrev_b32_e32 v25, v24, v23
	s_wait_alu 0xfffd
	v_cndmask_b32_e32 v15, v21, v15, vcc_lo
	v_add_co_u32 v0, vcc_lo, v0, s14
	s_wait_alu 0xfffd
	v_add_co_ci_u32_e32 v1, vcc_lo, s15, v1, vcc_lo
	v_lshlrev_b32_e32 v21, v24, v25
	v_and_b32_e32 v24, 7, v15
	v_cmp_eq_u32_e32 vcc_lo, 0x40f, v17
	v_mul_f64_e32 v[10:11], s[10:11], v[10:11]
	s_delay_alu instid0(VALU_DEP_4) | instskip(NEXT) | instid1(VALU_DEP_4)
	v_cmp_ne_u32_e64 s1, v21, v23
	v_cmp_eq_u32_e64 s0, 3, v24
	s_wait_alu 0xfffd
	v_cndmask_b32_e32 v17, v18, v12, vcc_lo
	v_cmp_lt_i32_e32 vcc_lo, 5, v24
	v_lshrrev_b32_e32 v12, 2, v15
	v_lshrrev_b32_e32 v18, 16, v13
	s_wait_alu 0xf1ff
	v_cndmask_b32_e64 v13, 0, 1, s1
	v_add_nc_u32_e32 v15, 0xfffffc10, v22
	s_or_b32 vcc_lo, s0, vcc_lo
	s_wait_alu 0xfffe
	v_add_co_ci_u32_e32 v12, vcc_lo, 0, v12, vcc_lo
	v_cmp_ne_u32_e32 vcc_lo, 0, v16
	v_or_b32_e32 v20, v25, v13
	v_lshl_or_b32 v21, v15, 12, v3
	v_and_or_b32 v17, 0x8000, v18, v17
	v_and_or_b32 v5, 0x1ff, v6, v5
	s_wait_alu 0xfffd
	v_cndmask_b32_e64 v16, 0, 1, vcc_lo
	v_cmp_gt_i32_e32 vcc_lo, 31, v19
	v_mul_f64_e32 v[8:9], s[10:11], v[8:9]
	v_bfe_u32 v23, v6, 20, 11
	v_and_b32_e32 v17, 0xffff, v17
	v_lshl_or_b32 v16, v16, 9, 0x7c00
	s_wait_alu 0xfffd
	v_cndmask_b32_e32 v22, 0x7c00, v12, vcc_lo
	v_add_co_u32 v12, vcc_lo, v0, s14
	s_wait_alu 0xfffd
	v_add_co_ci_u32_e32 v13, vcc_lo, s15, v1, vcc_lo
	v_cmp_gt_i32_e32 vcc_lo, 1, v15
	s_wait_alu 0xfffd
	v_cndmask_b32_e32 v20, v21, v20, vcc_lo
	v_cmp_ne_u32_e32 vcc_lo, 0, v5
	v_lshrrev_b32_e32 v21, 8, v6
	v_and_or_b32 v10, 0x1ff, v11, v10
	v_lshrrev_b32_e32 v6, 16, v6
	s_wait_alu 0xfffd
	v_cndmask_b32_e64 v5, 0, 1, vcc_lo
	v_cmp_eq_u32_e32 vcc_lo, 0x40f, v19
	v_and_b32_e32 v19, 7, v20
	s_delay_alu instid0(VALU_DEP_3)
	v_and_or_b32 v5, 0xffe, v21, v5
	s_wait_alu 0xfffd
	v_cndmask_b32_e32 v16, v22, v16, vcc_lo
	v_sub_nc_u32_e32 v21, 0x3f1, v23
	v_cmp_lt_i32_e32 vcc_lo, 5, v19
	v_cmp_eq_u32_e64 s0, 3, v19
	v_lshrrev_b32_e32 v19, 2, v20
	v_and_or_b32 v7, 0x8000, v7, v16
	v_or_b32_e32 v16, 0x1000, v5
	v_med3_i32 v18, v21, 0, 13
	s_or_b32 vcc_lo, s0, vcc_lo
	v_lshrrev_b32_e32 v21, 8, v11
	s_wait_alu 0xfffe
	v_add_co_ci_u32_e32 v19, vcc_lo, 0, v19, vcc_lo
	v_lshrrev_b32_e32 v20, v18, v16
	v_cmp_ne_u32_e32 vcc_lo, 0, v10
	v_bfe_u32 v22, v11, 20, 11
	v_and_or_b32 v8, 0x1ff, v9, v8
	v_lshrrev_b32_e32 v24, 8, v9
	v_lshlrev_b32_e32 v18, v18, v20
	s_wait_alu 0xfffd
	v_cndmask_b32_e64 v10, 0, 1, vcc_lo
	v_cmp_ne_u32_e32 vcc_lo, 0, v3
	v_bfe_u32 v25, v9, 20, 11
	v_lshrrev_b32_e32 v11, 16, v11
	v_lshrrev_b32_e32 v9, 16, v9
	v_and_or_b32 v10, 0xffe, v21, v10
	s_wait_alu 0xfffd
	v_cndmask_b32_e64 v3, 0, 1, vcc_lo
	v_cmp_ne_u32_e32 vcc_lo, v18, v16
	v_sub_nc_u32_e32 v21, 0x3f1, v22
	v_add_nc_u32_e32 v18, 0xfffffc10, v23
	v_or_b32_e32 v23, 0x1000, v10
	v_lshl_or_b32 v3, v3, 9, 0x7c00
	s_wait_alu 0xfffd
	v_cndmask_b32_e64 v16, 0, 1, vcc_lo
	v_cmp_gt_i32_e32 vcc_lo, 31, v15
	v_med3_i32 v21, v21, 0, 13
	s_delay_alu instid0(VALU_DEP_3)
	v_or_b32_e32 v16, v20, v16
	s_wait_alu 0xfffd
	v_cndmask_b32_e32 v19, 0x7c00, v19, vcc_lo
	v_cmp_ne_u32_e32 vcc_lo, 0, v8
	v_lshl_or_b32 v20, v18, 12, v5
	v_lshrrev_b32_e32 v26, v21, v23
	s_wait_alu 0xfffd
	v_cndmask_b32_e64 v8, 0, 1, vcc_lo
	v_cmp_gt_i32_e32 vcc_lo, 1, v18
	s_delay_alu instid0(VALU_DEP_2)
	v_and_or_b32 v8, 0xffe, v24, v8
	v_sub_nc_u32_e32 v24, 0x3f1, v25
	s_wait_alu 0xfffd
	v_cndmask_b32_e32 v16, v20, v16, vcc_lo
	v_lshlrev_b32_e32 v20, v21, v26
	v_cmp_eq_u32_e32 vcc_lo, 0x40f, v15
	v_or_b32_e32 v21, 0x1000, v8
	v_med3_i32 v24, v24, 0, 13
	v_and_b32_e32 v27, 7, v16
	v_lshrrev_b32_e32 v16, 2, v16
	s_wait_alu 0xfffd
	v_cndmask_b32_e32 v3, v19, v3, vcc_lo
	v_cmp_ne_u32_e32 vcc_lo, v20, v23
	v_add_nc_u32_e32 v19, 0xfffffc10, v22
	v_lshrrev_b32_e32 v20, v24, v21
	v_cmp_eq_u32_e64 s0, 3, v27
	v_and_or_b32 v3, 0x8000, v4, v3
	s_wait_alu 0xfffd
	v_cndmask_b32_e64 v15, 0, 1, vcc_lo
	v_lshl_or_b32 v22, v19, 12, v10
	v_lshlrev_b32_e32 v23, v24, v20
	v_cmp_gt_i32_e64 s1, 1, v19
	v_cmp_lt_i32_e32 vcc_lo, 5, v27
	v_or_b32_e32 v15, v26, v15
	s_or_b32 vcc_lo, s0, vcc_lo
	s_delay_alu instid0(VALU_DEP_1)
	v_cndmask_b32_e64 v15, v22, v15, s1
	v_cmp_ne_u32_e64 s1, v23, v21
	v_add_nc_u32_e32 v22, 0xfffffc10, v25
	s_wait_alu 0xfffe
	v_add_co_ci_u32_e32 v16, vcc_lo, 0, v16, vcc_lo
	v_and_b32_e32 v23, 7, v15
	s_wait_alu 0xf1ff
	v_cndmask_b32_e64 v21, 0, 1, s1
	v_cmp_ne_u32_e32 vcc_lo, 0, v5
	v_cmp_gt_i32_e64 s0, 1, v22
	v_lshrrev_b32_e32 v15, 2, v15
	v_cmp_gt_i32_e64 s1, 31, v18
	v_or_b32_e32 v20, v20, v21
	v_lshl_or_b32 v21, v22, 12, v8
	s_wait_alu 0xfffd
	v_cndmask_b32_e64 v5, 0, 1, vcc_lo
	v_cmp_lt_i32_e32 vcc_lo, 5, v23
	s_wait_alu 0xf1ff
	v_cndmask_b32_e64 v16, 0x7c00, v16, s1
	v_cmp_eq_u32_e64 s1, 0x40f, v18
	v_cndmask_b32_e64 v4, v21, v20, s0
	v_cmp_eq_u32_e64 s0, 3, v23
	v_lshl_or_b32 v5, v5, 9, 0x7c00
	s_delay_alu instid0(VALU_DEP_3) | instskip(NEXT) | instid1(VALU_DEP_3)
	v_and_b32_e32 v20, 7, v4
	s_or_b32 vcc_lo, s0, vcc_lo
	v_lshrrev_b32_e32 v4, 2, v4
	s_wait_alu 0xfffe
	v_add_co_ci_u32_e32 v15, vcc_lo, 0, v15, vcc_lo
	v_cmp_ne_u32_e32 vcc_lo, 0, v10
	v_cmp_eq_u32_e64 s0, 3, v20
	v_cndmask_b32_e64 v5, v16, v5, s1
	v_cmp_gt_i32_e64 s1, 31, v19
	s_wait_alu 0xfffd
	v_cndmask_b32_e64 v10, 0, 1, vcc_lo
	v_cmp_lt_i32_e32 vcc_lo, 5, v20
	v_and_or_b32 v5, 0x8000, v6, v5
	s_wait_alu 0xf1ff
	v_cndmask_b32_e64 v15, 0x7c00, v15, s1
	v_and_b32_e32 v6, 0xffff, v3
	v_lshl_or_b32 v10, v10, 9, 0x7c00
	s_or_b32 vcc_lo, s0, vcc_lo
	s_wait_alu 0xfffe
	v_add_co_ci_u32_e32 v4, vcc_lo, 0, v4, vcc_lo
	v_cmp_ne_u32_e32 vcc_lo, 0, v8
	s_wait_alu 0xfffd
	v_cndmask_b32_e64 v8, 0, 1, vcc_lo
	v_cmp_eq_u32_e32 vcc_lo, 0x40f, v19
	s_delay_alu instid0(VALU_DEP_2) | instskip(SKIP_4) | instid1(VALU_DEP_3)
	v_lshl_or_b32 v8, v8, 9, 0x7c00
	s_wait_alu 0xfffd
	v_cndmask_b32_e32 v10, v15, v10, vcc_lo
	v_cmp_gt_i32_e32 vcc_lo, 31, v22
	v_lshl_or_b32 v15, v7, 16, v17
	v_and_or_b32 v7, 0x8000, v11, v10
	s_wait_alu 0xfffd
	v_cndmask_b32_e32 v4, 0x7c00, v4, vcc_lo
	v_cmp_eq_u32_e32 vcc_lo, 0x40f, v22
	v_lshl_or_b32 v10, v5, 16, v6
	s_wait_alu 0xfffd
	s_delay_alu instid0(VALU_DEP_3) | instskip(SKIP_3) | instid1(VALU_DEP_3)
	v_dual_cndmask_b32 v8, v4, v8 :: v_dual_and_b32 v7, 0xffff, v7
	v_add_co_u32 v3, vcc_lo, v12, s14
	s_wait_alu 0xfffd
	v_add_co_ci_u32_e32 v4, vcc_lo, s15, v13, vcc_lo
	v_and_or_b32 v8, 0x8000, v9, v8
	s_delay_alu instid0(VALU_DEP_3) | instskip(SKIP_1) | instid1(VALU_DEP_3)
	v_add_co_u32 v5, vcc_lo, v3, s14
	s_wait_alu 0xfffd
	v_add_co_ci_u32_e32 v6, vcc_lo, s15, v4, vcc_lo
	s_delay_alu instid0(VALU_DEP_3) | instskip(NEXT) | instid1(VALU_DEP_3)
	v_lshl_or_b32 v9, v8, 16, v7
	v_add_co_u32 v7, vcc_lo, v5, s14
	s_wait_alu 0xfffd
	s_delay_alu instid0(VALU_DEP_3)
	v_add_co_ci_u32_e32 v8, vcc_lo, s15, v6, vcc_lo
	global_store_b32 v[0:1], v2, off
	global_store_b32 v[12:13], v14, off
	;; [unrolled: 1-line block ×5, first 2 shown]
.LBB0_2:
	s_nop 0
	s_sendmsg sendmsg(MSG_DEALLOC_VGPRS)
	s_endpgm
	.section	.rodata,"a",@progbits
	.p2align	6, 0x0
	.amdhsa_kernel bluestein_single_fwd_len3200_dim1_half_op_CI_CI
		.amdhsa_group_segment_fixed_size 12800
		.amdhsa_private_segment_fixed_size 0
		.amdhsa_kernarg_size 104
		.amdhsa_user_sgpr_count 2
		.amdhsa_user_sgpr_dispatch_ptr 0
		.amdhsa_user_sgpr_queue_ptr 0
		.amdhsa_user_sgpr_kernarg_segment_ptr 1
		.amdhsa_user_sgpr_dispatch_id 0
		.amdhsa_user_sgpr_private_segment_size 0
		.amdhsa_wavefront_size32 1
		.amdhsa_uses_dynamic_stack 0
		.amdhsa_enable_private_segment 0
		.amdhsa_system_sgpr_workgroup_id_x 1
		.amdhsa_system_sgpr_workgroup_id_y 0
		.amdhsa_system_sgpr_workgroup_id_z 0
		.amdhsa_system_sgpr_workgroup_info 0
		.amdhsa_system_vgpr_workitem_id 0
		.amdhsa_next_free_vgpr 241
		.amdhsa_next_free_sgpr 20
		.amdhsa_reserve_vcc 1
		.amdhsa_float_round_mode_32 0
		.amdhsa_float_round_mode_16_64 0
		.amdhsa_float_denorm_mode_32 3
		.amdhsa_float_denorm_mode_16_64 3
		.amdhsa_fp16_overflow 0
		.amdhsa_workgroup_processor_mode 1
		.amdhsa_memory_ordered 1
		.amdhsa_forward_progress 0
		.amdhsa_round_robin_scheduling 0
		.amdhsa_exception_fp_ieee_invalid_op 0
		.amdhsa_exception_fp_denorm_src 0
		.amdhsa_exception_fp_ieee_div_zero 0
		.amdhsa_exception_fp_ieee_overflow 0
		.amdhsa_exception_fp_ieee_underflow 0
		.amdhsa_exception_fp_ieee_inexact 0
		.amdhsa_exception_int_div_zero 0
	.end_amdhsa_kernel
	.text
.Lfunc_end0:
	.size	bluestein_single_fwd_len3200_dim1_half_op_CI_CI, .Lfunc_end0-bluestein_single_fwd_len3200_dim1_half_op_CI_CI
                                        ; -- End function
	.section	.AMDGPU.csdata,"",@progbits
; Kernel info:
; codeLenInByte = 40596
; NumSgprs: 22
; NumVgprs: 241
; ScratchSize: 0
; MemoryBound: 0
; FloatMode: 240
; IeeeMode: 1
; LDSByteSize: 12800 bytes/workgroup (compile time only)
; SGPRBlocks: 2
; VGPRBlocks: 30
; NumSGPRsForWavesPerEU: 22
; NumVGPRsForWavesPerEU: 241
; Occupancy: 5
; WaveLimiterHint : 1
; COMPUTE_PGM_RSRC2:SCRATCH_EN: 0
; COMPUTE_PGM_RSRC2:USER_SGPR: 2
; COMPUTE_PGM_RSRC2:TRAP_HANDLER: 0
; COMPUTE_PGM_RSRC2:TGID_X_EN: 1
; COMPUTE_PGM_RSRC2:TGID_Y_EN: 0
; COMPUTE_PGM_RSRC2:TGID_Z_EN: 0
; COMPUTE_PGM_RSRC2:TIDIG_COMP_CNT: 0
	.text
	.p2alignl 7, 3214868480
	.fill 96, 4, 3214868480
	.type	__hip_cuid_1ac4d50e403321f2,@object ; @__hip_cuid_1ac4d50e403321f2
	.section	.bss,"aw",@nobits
	.globl	__hip_cuid_1ac4d50e403321f2
__hip_cuid_1ac4d50e403321f2:
	.byte	0                               ; 0x0
	.size	__hip_cuid_1ac4d50e403321f2, 1

	.ident	"AMD clang version 19.0.0git (https://github.com/RadeonOpenCompute/llvm-project roc-6.4.0 25133 c7fe45cf4b819c5991fe208aaa96edf142730f1d)"
	.section	".note.GNU-stack","",@progbits
	.addrsig
	.addrsig_sym __hip_cuid_1ac4d50e403321f2
	.amdgpu_metadata
---
amdhsa.kernels:
  - .args:
      - .actual_access:  read_only
        .address_space:  global
        .offset:         0
        .size:           8
        .value_kind:     global_buffer
      - .actual_access:  read_only
        .address_space:  global
        .offset:         8
        .size:           8
        .value_kind:     global_buffer
      - .actual_access:  read_only
        .address_space:  global
        .offset:         16
        .size:           8
        .value_kind:     global_buffer
      - .actual_access:  read_only
        .address_space:  global
        .offset:         24
        .size:           8
        .value_kind:     global_buffer
      - .actual_access:  read_only
        .address_space:  global
        .offset:         32
        .size:           8
        .value_kind:     global_buffer
      - .offset:         40
        .size:           8
        .value_kind:     by_value
      - .address_space:  global
        .offset:         48
        .size:           8
        .value_kind:     global_buffer
      - .address_space:  global
        .offset:         56
        .size:           8
        .value_kind:     global_buffer
      - .address_space:  global
        .offset:         64
        .size:           8
        .value_kind:     global_buffer
      - .address_space:  global
        .offset:         72
        .size:           8
        .value_kind:     global_buffer
      - .offset:         80
        .size:           4
        .value_kind:     by_value
      - .address_space:  global
        .offset:         88
        .size:           8
        .value_kind:     global_buffer
      - .address_space:  global
        .offset:         96
        .size:           8
        .value_kind:     global_buffer
    .group_segment_fixed_size: 12800
    .kernarg_segment_align: 8
    .kernarg_segment_size: 104
    .language:       OpenCL C
    .language_version:
      - 2
      - 0
    .max_flat_workgroup_size: 160
    .name:           bluestein_single_fwd_len3200_dim1_half_op_CI_CI
    .private_segment_fixed_size: 0
    .sgpr_count:     22
    .sgpr_spill_count: 0
    .symbol:         bluestein_single_fwd_len3200_dim1_half_op_CI_CI.kd
    .uniform_work_group_size: 1
    .uses_dynamic_stack: false
    .vgpr_count:     241
    .vgpr_spill_count: 0
    .wavefront_size: 32
    .workgroup_processor_mode: 1
amdhsa.target:   amdgcn-amd-amdhsa--gfx1201
amdhsa.version:
  - 1
  - 2
...

	.end_amdgpu_metadata
